;; amdgpu-corpus repo=ROCm/aiter kind=harvested arch=n/a opt=n/a

/root/src/amdgpu-assembly/repos/ROCm__aiter/hsa/gfx950/fmoe_2stages/fmoe_stage1_bf16_pertokenFp8_doweight_g1u1_32x128_3tg_pf3.co:	file format elf64-amdgpu

Disassembly of section .text:

0000000000002a00 <_ZN5aiter57fmoe_stage1_bf16_pertokenFp8_doweight_g1u1_32x128_3tg_pf3E>:
	s_and_b32 s1, s1, 0xffff                                   // 000000002A00: 8601FF01 0000FFFF
	s_load_dwordx2 s[8:9], s[0:1], 0x0                         // 000000002A08: C0060200 00000000
	s_load_dwordx2 s[20:21], s[0:1], 0x10                      // 000000002A10: C0060500 00000010
	s_load_dwordx2 s[24:25], s[0:1], 0x20                      // 000000002A18: C0060600 00000020
	s_load_dwordx2 s[48:49], s[0:1], 0x30                      // 000000002A20: C0060C00 00000030
	s_load_dwordx2 s[28:29], s[0:1], 0x40                      // 000000002A28: C0060700 00000040
	s_load_dwordx2 s[32:33], s[0:1], 0x50                      // 000000002A30: C0060800 00000050
	s_load_dwordx2 s[36:37], s[0:1], 0x60                      // 000000002A38: C0060900 00000060
	s_load_dwordx2 s[12:13], s[0:1], 0x70                      // 000000002A40: C0060300 00000070
	s_load_dwordx2 s[44:45], s[0:1], 0x80                      // 000000002A48: C0060B00 00000080
	s_mov_b32 s89, 0                                           // 000000002A50: BED90080
	s_load_dword s64, s[0:1], 0x90                             // 000000002A54: C0021000 00000090
	s_load_dword s65, s[0:1], 0xa0                             // 000000002A5C: C0021040 000000A0
	s_load_dword s66, s[0:1], 0xb0                             // 000000002A64: C0021080 000000B0
	s_load_dword s67, s[0:1], 0xc0                             // 000000002A6C: C00210C0 000000C0
	s_load_dword s68, s[0:1], 0xd0                             // 000000002A74: C0021100 000000D0
	s_load_dword s69, s[0:1], 0xe0                             // 000000002A7C: C0021140 000000E0
	s_load_dword s71, s[0:1], 0xf0                             // 000000002A84: C00211C0 000000F0
	s_load_dword s72, s[0:1], 0x100                            // 000000002A8C: C0021200 00000100
	s_load_dword s74, s[0:1], 0x110                            // 000000002A94: C0021280 00000110
	s_load_dword s76, s[0:1], 0x120                            // 000000002A9C: C0021300 00000120
	s_load_dword s56, s[0:1], 0x130                            // 000000002AA4: C0020E00 00000130
	s_load_dword s88, s[0:1], 0x140                            // 000000002AAC: C0021600 00000140
	s_load_dword s89, s[0:1], 0x150                            // 000000002AB4: C0021640 00000150
	s_load_dwordx2 s[40:41], s[0:1], 0x160                     // 000000002ABC: C0060A00 00000160
	v_lshrrev_b32_e32 v1, 10, v0                               // 000000002AC4: 2002008A
	v_lshrrev_b32_e32 v2, 10, v1                               // 000000002AC8: 2004028A
	v_and_b32_e32 v2, 0x3ff, v2                                // 000000002ACC: 260404FF 000003FF
	v_and_b32_e32 v1, 0x3ff, v1                                // 000000002AD4: 260202FF 000003FF
	v_and_b32_e32 v0, 0x3ff, v0                                // 000000002ADC: 260000FF 000003FF
	v_lshrrev_b32_e32 v3, 6, v0                                // 000000002AE4: 20060086
	v_and_b32_e32 v0, 63, v0                                   // 000000002AE8: 260000BF
	s_mov_b32 s2, s2                                           // 000000002AEC: BE820002
	s_mov_b32 s3, s3                                           // 000000002AF0: BE830003
	s_mov_b32 s4, s4                                           // 000000002AF4: BE840004
	v_readfirstlane_b32 s7, v3                                 // 000000002AF8: 7E0E0503
	s_waitcnt lgkmcnt(0)                                       // 000000002AFC: BF8CC07F
	s_and_b32 s49, s49, 0xffff                                 // 000000002B00: 8631FF31 0000FFFF
	s_load_dword s48, s[48:49], 0x0                            // 000000002B08: C0020C18 00000000
	s_and_b32 s45, s45, 0xffff                                 // 000000002B10: 862DFF2D 0000FFFF
	s_and_b32 s9, s9, 0xffff                                   // 000000002B18: 8609FF09 0000FFFF
	s_mul_i32 s60, s66, s68                                    // 000000002B20: 923C4442
	s_mul_i32 s61, s66, 4                                      // 000000002B24: 923D8442
	s_mov_b32 s22, s60                                         // 000000002B28: BE96003C
	s_mov_b32 s26, -16                                         // 000000002B2C: BE9A00D0
	s_mov_b32 s30, s61                                         // 000000002B30: BE9E003D
	s_mov_b32 s14, 0x80                                        // 000000002B34: BE8E00FF 00000080
	s_mov_b32 s38, -16                                         // 000000002B3C: BEA600D0
	s_mov_b32 s10, -16                                         // 000000002B40: BE8A00D0
	s_mov_b32 s34, 0x200                                       // 000000002B44: BEA200FF 00000200
	s_mov_b32 s23, 0x20000                                     // 000000002B4C: BE9700FF 00020000
	s_mov_b32 s27, 0x20000                                     // 000000002B54: BE9B00FF 00020000
	s_mov_b32 s31, 0x20000                                     // 000000002B5C: BE9F00FF 00020000
	s_mov_b32 s35, 0x20000                                     // 000000002B64: BEA300FF 00020000
	s_mov_b32 s15, 0x20000                                     // 000000002B6C: BE8F00FF 00020000
	s_mov_b32 s39, 0x20000                                     // 000000002B74: BEA700FF 00020000
	s_mov_b32 s11, 0x20000                                     // 000000002B7C: BE8B00FF 00020000
	s_and_b32 s21, s21, 0xffff                                 // 000000002B84: 8615FF15 0000FFFF
	s_and_b32 s25, s25, 0xffff                                 // 000000002B8C: 8619FF19 0000FFFF
	s_and_b32 s29, s29, 0xffff                                 // 000000002B94: 861DFF1D 0000FFFF
	s_and_b32 s33, s33, 0xffff                                 // 000000002B9C: 8621FF21 0000FFFF
	s_and_b32 s13, s13, 0xffff                                 // 000000002BA4: 860DFF0D 0000FFFF
	s_and_b32 s37, s37, 0xffff                                 // 000000002BAC: 8625FF25 0000FFFF
	s_or_b32 s21, s21, 0x40000                                 // 000000002BB4: 8715FF15 00040000
	s_or_b32 s25, s25, 0x40000                                 // 000000002BBC: 8719FF19 00040000
	s_or_b32 s29, s29, 0x40000                                 // 000000002BC4: 871DFF1D 00040000
	s_or_b32 s33, s33, 0x40000                                 // 000000002BCC: 8721FF21 00040000
	s_or_b32 s13, s13, 0x40000                                 // 000000002BD4: 870DFF0D 00040000
	s_or_b32 s37, s37, 0x40000                                 // 000000002BDC: 8725FF25 00040000
	s_mov_b32 s42, -16                                         // 000000002BE4: BEAA00D0
	s_mov_b32 s43, 0x20000                                     // 000000002BE8: BEAB00FF 00020000
	s_and_b32 s41, s41, 0xffff                                 // 000000002BF0: 8629FF29 0000FFFF
	s_or_b32 s41, s41, 0x40000                                 // 000000002BF8: 8729FF29 00040000
	v_accvgpr_write_b32 a79, 0                                 // 000000002C00: D3D9404F 18000080
	v_mov_b32_e32 v77, 0                                       // 000000002C08: 7E9A0280
	s_waitcnt lgkmcnt(0)                                       // 000000002C0C: BF8CC07F
	s_mul_i32 s60, s3, 32                                      // 000000002C10: 923CA003
	s_cmp_lt_i32 s60, s48                                      // 000000002C14: BF04303C
	s_cbranch_scc0 label_11D3                                  // 000000002C18: BF841149
	s_mov_b32 s80, 0                                           // 000000002C1C: BED00080
	s_lshr_b32 s81, s64, s88                                   // 000000002C20: 8F515840
	s_mul_i32 s60, s3, 4                                       // 000000002C24: 923C8403
	s_add_u32 s44, s60, s44                                    // 000000002C28: 802C2C3C
	s_addc_u32 s45, 0, s45                                     // 000000002C2C: 822D2D80
	s_load_dword s5, s[44:45], 0x0                             // 000000002C30: C0020156 00000000
	s_mul_i32 s60, s3, 32                                      // 000000002C38: 923CA003
	s_mul_i32 s60, 4, s60                                      // 000000002C3C: 923C3C84
	s_add_u32 s12, s60, s12                                    // 000000002C40: 800C0C3C
	s_addc_u32 s13, 0, s13                                     // 000000002C44: 820D0D80
	v_and_b32_e32 v4, 15, v0                                   // 000000002C48: 2608008F
	v_lshlrev_b32_e32 v4, 2, v4                                // 000000002C4C: 24080882
	buffer_load_dword v30, v4, s[12:15], 0 offen               // 000000002C50: E0501000 80031E04
	v_add_u32_e32 v4, 64, v4                                   // 000000002C58: 680808C0
	buffer_load_dword v31, v4, s[12:15], 0 offen               // 000000002C5C: E0501000 80031F04
	v_add_u32_e32 v4, 64, v4                                   // 000000002C64: 680808C0
	s_mul_i32 s60, 4, s7                                       // 000000002C68: 923C0784
	v_lshlrev_b32_e32 v4, 4, v0                                // 000000002C6C: 24080084
	v_add_u32_e32 v4, s60, v4                                  // 000000002C70: 6808083C
	buffer_load_dword v3, v4, s[12:15], 0 offen                // 000000002C74: E0501000 80030304
	v_mov_b32_e32 v44, 0                                       // 000000002C7C: 7E580280
	v_mov_b32_e32 v60, 0                                       // 000000002C80: 7E780280
	v_mov_b32_e32 v45, 0                                       // 000000002C84: 7E5A0280
	v_mov_b32_e32 v61, 0                                       // 000000002C88: 7E7A0280
	v_mov_b32_e32 v46, 0                                       // 000000002C8C: 7E5C0280
	v_mov_b32_e32 v62, 0                                       // 000000002C90: 7E7C0280
	v_mov_b32_e32 v47, 0                                       // 000000002C94: 7E5E0280
	v_mov_b32_e32 v63, 0                                       // 000000002C98: 7E7E0280
	v_mov_b32_e32 v48, 0                                       // 000000002C9C: 7E600280
	v_mov_b32_e32 v64, 0                                       // 000000002CA0: 7E800280
	v_mov_b32_e32 v49, 0                                       // 000000002CA4: 7E620280
	v_mov_b32_e32 v65, 0                                       // 000000002CA8: 7E820280
	v_mov_b32_e32 v50, 0                                       // 000000002CAC: 7E640280
	v_mov_b32_e32 v66, 0                                       // 000000002CB0: 7E840280
	v_mov_b32_e32 v51, 0                                       // 000000002CB4: 7E660280
	v_mov_b32_e32 v67, 0                                       // 000000002CB8: 7E860280
	v_mov_b32_e32 v52, 0                                       // 000000002CBC: 7E680280
	v_mov_b32_e32 v68, 0                                       // 000000002CC0: 7E880280
	v_mov_b32_e32 v53, 0                                       // 000000002CC4: 7E6A0280
	v_mov_b32_e32 v69, 0                                       // 000000002CC8: 7E8A0280
	v_mov_b32_e32 v54, 0                                       // 000000002CCC: 7E6C0280
	v_mov_b32_e32 v70, 0                                       // 000000002CD0: 7E8C0280
	v_mov_b32_e32 v55, 0                                       // 000000002CD4: 7E6E0280
	v_mov_b32_e32 v71, 0                                       // 000000002CD8: 7E8E0280
	v_mov_b32_e32 v56, 0                                       // 000000002CDC: 7E700280
	v_mov_b32_e32 v72, 0                                       // 000000002CE0: 7E900280
	v_mov_b32_e32 v57, 0                                       // 000000002CE4: 7E720280
	v_mov_b32_e32 v73, 0                                       // 000000002CE8: 7E920280
	v_mov_b32_e32 v58, 0                                       // 000000002CEC: 7E740280
	v_mov_b32_e32 v74, 0                                       // 000000002CF0: 7E940280
	v_mov_b32_e32 v59, 0                                       // 000000002CF4: 7E760280
	v_mov_b32_e32 v75, 0                                       // 000000002CF8: 7E960280
	s_mul_i32 s60, s2, 0x100                                   // 000000002CFC: 923CFF02 00000100
	s_cmp_eq_u32 s88, 0                                        // 000000002D04: BF068058
	s_cselect_b32 s61, 1, 2                                    // 000000002D08: 853D8281
	s_mul_i32 s60, s60, s61                                    // 000000002D0C: 923C3D3C
	s_mov_b32 s90, s8                                          // 000000002D10: BEDA0008
	s_mov_b32 s91, s9                                          // 000000002D14: BEDB0009
	s_add_u32 s8, s60, s8                                      // 000000002D18: 8008083C
	s_addc_u32 s9, 0, s9                                       // 000000002D1C: 82090980
	v_lshrrev_b32_e32 v4, 4, v0                                // 000000002D20: 20080084
	v_mul_lo_u32 v20, 34, v4                                   // 000000002D24: D2850014 000208A2
	v_and_b32_e32 v4, 15, v0                                   // 000000002D2C: 2608008F
	v_mul_lo_u32 v5, 2, v4                                     // 000000002D30: D2850005 00020882
	v_add_u32_e32 v20, v5, v20                                 // 000000002D38: 68282905
	s_mul_i32 s60, s7, 0x88                                    // 000000002D3C: 923CFF07 00000088
	v_add_u32_e32 v20, s60, v20                                // 000000002D44: 6828283C
	v_lshlrev_b32_e32 v20, 2, v20                              // 000000002D48: 24282882
	v_and_b32_e32 v4, 31, v0                                   // 000000002D4C: 2608009F
	v_lshrrev_b32_e32 v4, 1, v4                                // 000000002D50: 20080881
	v_mul_lo_u32 v21, 34, v4                                   // 000000002D54: D2850015 000208A2
	v_lshrrev_b32_e32 v4, 5, v0                                // 000000002D5C: 20080085
	v_mul_lo_u32 v4, 8, v4                                     // 000000002D60: D2850004 00020888
	v_add_u32_e32 v21, v21, v4                                 // 000000002D68: 682A0915
	v_and_b32_e32 v5, 1, v0                                    // 000000002D6C: 260A0081
	v_add_u32_e32 v21, v5, v21                                 // 000000002D70: 682A2B05
	s_mul_i32 s60, s7, 2                                       // 000000002D74: 923C8207
	v_add_u32_e32 v21, s60, v21                                // 000000002D78: 682A2A3C
	v_lshlrev_b32_e32 v21, 2, v21                              // 000000002D7C: 242A2A82
	s_mul_i32 s60, s7, 0x420                                   // 000000002D80: 923CFF07 00000420
	s_add_u32 s48, 0, s60                                      // 000000002D88: 80303C80
	s_add_u32 s49, 0x1080, s48                                 // 000000002D8C: 803130FF 00001080
	s_add_u32 s50, 0x1080, s49                                 // 000000002D94: 803231FF 00001080
	v_lshrrev_b32_e32 v4, 4, v0                                // 000000002D9C: 20080084
	v_lshlrev_b32_e32 v5, 2, v4                                // 000000002DA0: 240A0882
	v_and_b32_e32 v4, 15, v0                                   // 000000002DA4: 2608008F
	v_lshrrev_b32_e32 v6, 2, v4                                // 000000002DA8: 200C0882
	v_lshlrev_b32_e32 v6, 5, v6                                // 000000002DAC: 240C0C85
	v_add_u32_e32 v5, v6, v5                                   // 000000002DB0: 680A0B06
	v_and_b32_e32 v4, 3, v0                                    // 000000002DB4: 26080083
	v_mul_u32_u24_e32 v6, 0x108, v4                            // 000000002DB8: 100C08FF 00000108
	v_add_u32_e32 v5, v6, v5                                   // 000000002DC0: 680A0B06
	v_lshlrev_b32_e32 v2, 2, v5                                // 000000002DC4: 24040A82
	s_waitcnt lgkmcnt(0)                                       // 000000002DC8: BF8CC07F
	s_mul_i32 s60, s2, 0x80                                    // 000000002DCC: 923CFF02 00000080
	s_mul_i32 s60, s60, s69                                    // 000000002DD4: 923C453C
	s_mul_i32 s61, s5, s72                                     // 000000002DD8: 923D4805
	s_add_u32 s60, s61, s60                                    // 000000002DDC: 803C3C3D
	s_add_u32 s24, s60, s24                                    // 000000002DE0: 8018183C
	s_addc_u32 s25, 0, s25                                     // 000000002DE4: 82191980
	s_lshr_b32 s60, s64, s88                                   // 000000002DE8: 8F3C5840
	s_mul_i32 s60, s4, s60                                     // 000000002DEC: 923C3C04
	s_lshr_b32 s60, s60, 7                                     // 000000002DF0: 8F3C873C
	s_mul_i32 s60, s60, 0x800                                  // 000000002DF4: 923CFF3C 00000800
	s_add_u32 s24, s60, s24                                    // 000000002DFC: 8018183C
	s_addc_u32 s25, 0, s25                                     // 000000002E00: 82191980
	s_lshr_b32 s60, s69, s88                                   // 000000002E04: 8F3C5845
	s_mul_i32 s60, s4, s60                                     // 000000002E08: 923C3C04
	s_add_u32 s20, s60, s20                                    // 000000002E0C: 8014143C
	s_addc_u32 s21, 0, s21                                     // 000000002E10: 82151580
	s_mul_i32 s60, s7, 16                                      // 000000002E14: 923C9007
	s_mul_i32 s60, s60, s69                                    // 000000002E18: 923C453C
	v_lshlrev_b32_e32 v42, 4, v0                               // 000000002E1C: 24540084
	v_add_u32_e32 v42, s60, v42                                // 000000002E20: 6854543C
	s_mul_i32 s60, 64, s69                                     // 000000002E24: 923C45C0
	v_add_u32_e32 v43, s60, v42                                // 000000002E28: 6856543C
	s_mov_b32 s84, s24                                         // 000000002E2C: BED40018
	s_mov_b32 s85, s25                                         // 000000002E30: BED50019
	s_mov_b32 s86, s26                                         // 000000002E34: BED6001A
	s_mov_b32 s87, s27                                         // 000000002E38: BED7001B
	s_mul_i32 s60, s69, s65                                    // 000000002E3C: 923C4145
	s_add_u32 s84, s60, s84                                    // 000000002E40: 8054543C
	s_addc_u32 s85, 0, s85                                     // 000000002E44: 82555580
	v_lshrrev_b32_e32 v4, 4, v0                                // 000000002E48: 20080084
	v_lshlrev_b32_e32 v5, 2, v4                                // 000000002E4C: 240A0882
	v_and_b32_e32 v4, 15, v0                                   // 000000002E50: 2608008F
	v_lshrrev_b32_e32 v6, 2, v4                                // 000000002E54: 200C0882
	v_lshlrev_b32_e32 v6, 6, v6                                // 000000002E58: 240C0C86
	v_add_u32_e32 v5, v6, v5                                   // 000000002E5C: 680A0B06
	v_and_b32_e32 v4, 3, v0                                    // 000000002E60: 26080083
	v_add_u32_e32 v5, v4, v5                                   // 000000002E64: 680A0B04
	v_lshlrev_b32_e32 v22, 2, v5                               // 000000002E68: 242C0A82
	s_mul_i32 s60, s7, 16                                      // 000000002E6C: 923C9007
	s_mul_i32 s60, s60, 4                                      // 000000002E70: 923C843C
	v_add_u32_e32 v22, s60, v22                                // 000000002E74: 682C2C3C
	s_mul_i32 s60, s2, 0x80                                    // 000000002E78: 923CFF02 00000080
	s_mul_i32 s60, s60, 4                                      // 000000002E80: 923C843C
	s_mul_i32 s61, s5, s74                                     // 000000002E84: 923D4A05
	s_add_u32 s61, s61, s60                                    // 000000002E88: 803D3C3D
	s_add_u32 s32, s61, s32                                    // 000000002E8C: 8020203D
	s_addc_u32 s33, 0, s33                                     // 000000002E90: 82212180
	s_mov_b32 s57, 0x80                                        // 000000002E94: BEB900FF 00000080
	s_mov_b32 s58, 0x800                                       // 000000002E9C: BEBA00FF 00000800
	s_mov_b32 s83, s58                                         // 000000002EA4: BED3003A
	s_mov_b32 s52, 0x7060302                                   // 000000002EA8: BEB400FF 07060302
	s_mov_b32 s53, 0x400                                       // 000000002EB0: BEB500FF 00000400
	s_mov_b32 s54, 0x40100                                     // 000000002EB8: BEB600FF 00040100
	s_mov_b32 s55, 0x4020100                                   // 000000002EC0: BEB700FF 04020100
	s_mov_b32 s6, 0x3fb8aa3b                                   // 000000002EC8: BE8600FF 3FB8AA3B
	s_mov_b32 s78, 0xbd92220c                                  // 000000002ED0: BECE00FF BD92220C
	s_mov_b32 s79, 0xbd92220c                                  // 000000002ED8: BECF00FF BD92220C
	s_mov_b32 m0, s48                                          // 000000002EE0: BEFC0030
	v_mov_b32_e32 v1, 0xbfcc4231                               // 000000002EE4: 7E0202FF BFCC4231
	v_mov_b32_e32 v17, 0xffff0000                              // 000000002EEC: 7E2202FF FFFF0000
	v_mov_b32_e32 v18, 0x7fff0000                              // 000000002EF4: 7E2402FF 7FFF0000
	v_mov_b32_e32 v19, 0x7fff                                  // 000000002EFC: 7E2602FF 00007FFF
	s_waitcnt vmcnt(0) expcnt(0) lgkmcnt(0)                    // 000000002F04: BF8C0000
	s_mul_i32 s60, s3, 32                                      // 000000002F08: 923CA003
	s_mul_i32 s60, 4, s60                                      // 000000002F0C: 923C3C84
	s_add_u32 s40, s60, s40                                    // 000000002F10: 8028283C
	s_addc_u32 s41, 0, s41                                     // 000000002F14: 82292980
	v_and_b32_e32 v4, 15, v0                                   // 000000002F18: 2608008F
	v_lshlrev_b32_e32 v4, 2, v4                                // 000000002F1C: 24080882
	buffer_load_dword v76, v4, s[40:43], 0 offen               // 000000002F20: E0501000 800A4C04
	buffer_load_dword v77, v4, s[40:43], 0 offen offset:64     // 000000002F28: E0501040 800A4D04
	v_lshrrev_b32_e32 v4, 5, v0                                // 000000002F30: 20080085
	v_xor_b32_e32 v5, 1, v4                                    // 000000002F34: 2A0A0881
	v_readlane_b32 s82, v3, 0                                  // 000000002F38: D2890052 00010103
	s_and_b32 s82, s82, 0xffffff                               // 000000002F40: 8652FF52 00FFFFFF
	v_mul_lo_u32 v6, v5, s82                                   // 000000002F48: D2850006 0000A505
	v_readlane_b32 s82, v3, 1                                  // 000000002F50: D2890052 00010303
	s_and_b32 s82, s82, 0xffffff                               // 000000002F58: 8652FF52 00FFFFFF
	v_mul_lo_u32 v7, v4, s82                                   // 000000002F60: D2850007 0000A504
	v_add_u32_e32 v38, v6, v7                                  // 000000002F68: 684C0F06
	v_mul_lo_u32 v38, v38, s68                                 // 000000002F6C: D2850026 00008926
	v_readlane_b32 s82, v3, 2                                  // 000000002F74: D2890052 00010503
	s_and_b32 s82, s82, 0xffffff                               // 000000002F7C: 8652FF52 00FFFFFF
	v_mul_lo_u32 v6, v5, s82                                   // 000000002F84: D2850006 0000A505
	v_readlane_b32 s82, v3, 3                                  // 000000002F8C: D2890052 00010703
	s_and_b32 s82, s82, 0xffffff                               // 000000002F94: 8652FF52 00FFFFFF
	v_mul_lo_u32 v7, v4, s82                                   // 000000002F9C: D2850007 0000A504
	v_add_u32_e32 v39, v6, v7                                  // 000000002FA4: 684E0F06
	v_mul_lo_u32 v39, v39, s68                                 // 000000002FA8: D2850027 00008927
	v_readlane_b32 s82, v3, 4                                  // 000000002FB0: D2890052 00010903
	s_and_b32 s82, s82, 0xffffff                               // 000000002FB8: 8652FF52 00FFFFFF
	v_mul_lo_u32 v6, v5, s82                                   // 000000002FC0: D2850006 0000A505
	v_readlane_b32 s82, v3, 5                                  // 000000002FC8: D2890052 00010B03
	s_and_b32 s82, s82, 0xffffff                               // 000000002FD0: 8652FF52 00FFFFFF
	v_mul_lo_u32 v7, v4, s82                                   // 000000002FD8: D2850007 0000A504
	v_add_u32_e32 v40, v6, v7                                  // 000000002FE0: 68500F06
	v_mul_lo_u32 v40, v40, s68                                 // 000000002FE4: D2850028 00008928
	v_readlane_b32 s82, v3, 6                                  // 000000002FEC: D2890052 00010D03
	s_and_b32 s82, s82, 0xffffff                               // 000000002FF4: 8652FF52 00FFFFFF
	v_mul_lo_u32 v6, v5, s82                                   // 000000002FFC: D2850006 0000A505
	v_readlane_b32 s82, v3, 7                                  // 000000003004: D2890052 00010F03
	s_and_b32 s82, s82, 0xffffff                               // 00000000300C: 8652FF52 00FFFFFF
	v_mul_lo_u32 v7, v4, s82                                   // 000000003014: D2850007 0000A504
	v_add_u32_e32 v41, v6, v7                                  // 00000000301C: 68520F06
	v_mul_lo_u32 v41, v41, s68                                 // 000000003020: D2850029 00008929
	v_and_b32_e32 v4, 31, v0                                   // 000000003028: 2608009F
	v_lshlrev_b32_e32 v4, 2, v4                                // 00000000302C: 24080882
	v_add_u32_e32 v38, v38, v4                                 // 000000003030: 684C0926
	v_add_u32_e32 v39, v39, v4                                 // 000000003034: 684E0927
	v_add_u32_e32 v40, v40, v4                                 // 000000003038: 68500928
	v_add_u32_e32 v41, v41, v4                                 // 00000000303C: 68520929
	v_and_b32_e32 v30, 0xffffff, v30                           // 000000003040: 263C3CFF 00FFFFFF
	v_lshlrev_b32_e32 v30, 2, v30                              // 000000003048: 243C3C82
	v_and_b32_e32 v31, 0xffffff, v31                           // 00000000304C: 263E3EFF 00FFFFFF
	v_lshlrev_b32_e32 v31, 2, v31                              // 000000003054: 243E3E82
	s_lshl_b32 s3, s66, 2                                      // 000000003058: 8E038242
	buffer_load_dword v32, v30, s[28:31], 0 offen              // 00000000305C: E0501000 8007201E
	buffer_load_dword v33, v31, s[28:31], 0 offen              // 000000003064: E0501000 8007211F
	buffer_load_dword v24, v22, s[32:35], 0 offen              // 00000000306C: E0501000 80081816
	s_mul_i32 s60, 4, s65                                      // 000000003074: 923C4184
	s_add_u32 s32, s60, s32                                    // 000000003078: 8020203C
	s_addc_u32 s33, 0, s33                                     // 00000000307C: 82212180
	buffer_load_dword v27, v22, s[32:35], 0 offen              // 000000003080: E0501000 80081B16
	buffer_load_dword v38, s[20:23], 0 offen lds               // 000000003088: E0511000 80050026
	s_add_u32 m0, 0x100, s48                                   // 000000003090: 807C30FF 00000100
	buffer_load_dword v39, s[20:23], 0 offen lds               // 000000003098: E0511000 80050027
	s_add_u32 m0, 0x200, s48                                   // 0000000030A0: 807C30FF 00000200
	buffer_load_dword v40, s[20:23], 0 offen lds               // 0000000030A8: E0511000 80050028
	s_add_u32 m0, 0x300, s48                                   // 0000000030B0: 807C30FF 00000300
	buffer_load_dword v41, s[20:23], 0 offen lds               // 0000000030B8: E0511000 80050029
	s_add_u32 m0, 0, s49                                       // 0000000030C0: 807C3180
	s_add_u32 s20, s57, s20                                    // 0000000030C4: 80141439
	s_addc_u32 s21, 0, s21                                     // 0000000030C8: 82151580
	buffer_load_dwordx4 a[32:35], v42, s[24:27], 0 offen       // 0000000030CC: E05C1000 8086202A
	buffer_load_dwordx4 a[36:39], v42, s[24:27], 0 offen offset:1024// 0000000030D4: E05C1400 8086242A
	buffer_load_dwordx4 a[40:43], v43, s[24:27], 0 offen       // 0000000030DC: E05C1000 8086282B
	buffer_load_dwordx4 a[44:47], v43, s[24:27], 0 offen offset:1024// 0000000030E4: E05C1400 80862C2B
	s_add_u32 s24, s58, s24                                    // 0000000030EC: 8018183A
	s_addc_u32 s25, 0, s25                                     // 0000000030F0: 82191980
	buffer_load_dword v38, s[20:23], 0 offen lds               // 0000000030F4: E0511000 80050026
	s_add_u32 m0, 0x100, s49                                   // 0000000030FC: 807C31FF 00000100
	buffer_load_dword v39, s[20:23], 0 offen lds               // 000000003104: E0511000 80050027
	s_add_u32 m0, 0x200, s49                                   // 00000000310C: 807C31FF 00000200
	buffer_load_dword v40, s[20:23], 0 offen lds               // 000000003114: E0511000 80050028
	s_add_u32 m0, 0x300, s49                                   // 00000000311C: 807C31FF 00000300
	buffer_load_dword v41, s[20:23], 0 offen lds               // 000000003124: E0511000 80050029
	s_add_u32 m0, 0, s50                                       // 00000000312C: 807C3280
	s_add_u32 s20, s57, s20                                    // 000000003130: 80141439
	s_addc_u32 s21, 0, s21                                     // 000000003134: 82151580
	buffer_load_dwordx4 a[48:51], v42, s[84:87], 0 offen       // 000000003138: E05C1000 8095302A
	buffer_load_dwordx4 a[52:55], v42, s[84:87], 0 offen offset:1024// 000000003140: E05C1400 8095342A
	buffer_load_dwordx4 a[56:59], v43, s[84:87], 0 offen       // 000000003148: E05C1000 8095382B
	buffer_load_dwordx4 a[60:63], v43, s[84:87], 0 offen offset:1024// 000000003150: E05C1400 80953C2B
	s_add_u32 s84, s83, s84                                    // 000000003158: 80545453
	s_addc_u32 s85, 0, s85                                     // 00000000315C: 82555580
	s_waitcnt vmcnt(12)                                        // 000000003160: BF8C0F7C
	s_barrier                                                  // 000000003164: BF8A0000
	ds_read_b128 a[0:3], v2                                    // 000000003168: DBFE0000 00000002
	ds_read_b128 a[4:7], v2 offset:64                          // 000000003170: DBFE0040 04000002
	ds_read_b128 a[8:11], v2 offset:512                        // 000000003178: DBFE0200 08000002
	ds_read_b128 a[12:15], v2 offset:576                       // 000000003180: DBFE0240 0C000002
	s_cmp_lt_i32 s7, 2                                         // 000000003188: BF048207
	s_cbranch_scc0 label_09DD                                  // 00000000318C: BF8407F6

0000000000003190 <label_01E4>:
	s_waitcnt vmcnt(8) lgkmcnt(0)                              // 000000003190: BF8C0078
	v_mfma_f32_16x16x32_fp8_fp8 v[44:47], a[32:33], a[0:1], v[44:47]// 000000003194: D3F3002C 1CB20120
	v_mfma_f32_16x16x32_fp8_fp8 v[44:47], a[34:35], a[2:3], v[44:47]// 00000000319C: D3F3002C 1CB20522
	buffer_load_dwordx4 a[64:67], v42, s[24:27], 0 offen       // 0000000031A4: E05C1000 8086402A
	v_mfma_f32_16x16x32_fp8_fp8 v[44:47], a[36:37], a[4:5], v[44:47]// 0000000031AC: D3F3002C 1CB20924
	v_mfma_f32_16x16x32_fp8_fp8 v[44:47], a[38:39], a[6:7], v[44:47]// 0000000031B4: D3F3002C 1CB20D26
	v_mfma_f32_16x16x32_fp8_fp8 v[52:55], a[40:41], a[0:1], v[52:55]// 0000000031BC: D3F30034 1CD20128
	v_mfma_f32_16x16x32_fp8_fp8 v[52:55], a[42:43], a[2:3], v[52:55]// 0000000031C4: D3F30034 1CD2052A
	buffer_load_dwordx4 a[68:71], v42, s[24:27], 0 offen offset:1024// 0000000031CC: E05C1400 8086442A
	v_mfma_f32_16x16x32_fp8_fp8 v[52:55], a[44:45], a[4:5], v[52:55]// 0000000031D4: D3F30034 1CD2092C
	v_mfma_f32_16x16x32_fp8_fp8 v[52:55], a[46:47], a[6:7], v[52:55]// 0000000031DC: D3F30034 1CD20D2E
	v_mfma_f32_16x16x32_fp8_fp8 v[48:51], a[32:33], a[8:9], v[48:51]// 0000000031E4: D3F30030 1CC21120
	v_mfma_f32_16x16x32_fp8_fp8 v[48:51], a[34:35], a[10:11], v[48:51]// 0000000031EC: D3F30030 1CC21522
	buffer_load_dwordx4 a[72:75], v43, s[24:27], 0 offen       // 0000000031F4: E05C1000 8086482B
	v_mfma_f32_16x16x32_fp8_fp8 v[48:51], a[36:37], a[12:13], v[48:51]// 0000000031FC: D3F30030 1CC21924
	v_mfma_f32_16x16x32_fp8_fp8 v[48:51], a[38:39], a[14:15], v[48:51]// 000000003204: D3F30030 1CC21D26
	v_mfma_f32_16x16x32_fp8_fp8 v[56:59], a[40:41], a[8:9], v[56:59]// 00000000320C: D3F30038 1CE21128
	v_mfma_f32_16x16x32_fp8_fp8 v[56:59], a[42:43], a[10:11], v[56:59]// 000000003214: D3F30038 1CE2152A
	buffer_load_dwordx4 a[76:79], v43, s[24:27], 0 offen offset:1024// 00000000321C: E05C1400 80864C2B
	buffer_load_dword v38, s[20:23], 0 offen lds               // 000000003224: E0511000 80050026
	s_add_u32 m0, 0x100, s50                                   // 00000000322C: 807C32FF 00000100
	v_mfma_f32_16x16x32_fp8_fp8 v[56:59], a[44:45], a[12:13], v[56:59]// 000000003234: D3F30038 1CE2192C
	v_mfma_f32_16x16x32_fp8_fp8 v[56:59], a[46:47], a[14:15], v[56:59]// 00000000323C: D3F30038 1CE21D2E
	buffer_load_dword v39, s[20:23], 0 offen lds               // 000000003244: E0511000 80050027
	s_add_u32 m0, 0x200, s50                                   // 00000000324C: 807C32FF 00000200
	buffer_load_dword v40, s[20:23], 0 offen lds               // 000000003254: E0511000 80050028
	s_add_u32 m0, 0x300, s50                                   // 00000000325C: 807C32FF 00000300
	buffer_load_dword v41, s[20:23], 0 offen lds               // 000000003264: E0511000 80050029
	s_add_u32 m0, 0, s48                                       // 00000000326C: 807C3080
	s_waitcnt vmcnt(8)                                         // 000000003270: BF8C0F78
	s_barrier                                                  // 000000003274: BF8A0000
	v_mfma_f32_16x16x32_fp8_fp8 v[60:63], a[48:49], a[0:1], v[60:63]// 000000003278: D3F3003C 1CF20130
	v_mfma_f32_16x16x32_fp8_fp8 v[60:63], a[50:51], a[2:3], v[60:63]// 000000003280: D3F3003C 1CF20532
	buffer_load_dwordx4 a[32:35], v42, s[84:87], 0 offen       // 000000003288: E05C1000 8095202A
	v_mfma_f32_16x16x32_fp8_fp8 v[60:63], a[52:53], a[4:5], v[60:63]// 000000003290: D3F3003C 1CF20934
	v_mfma_f32_16x16x32_fp8_fp8 v[60:63], a[54:55], a[6:7], v[60:63]// 000000003298: D3F3003C 1CF20D36
	ds_read_b128 a[16:19], v2 offset:4224                      // 0000000032A0: DBFE1080 10000002
	ds_read_b128 a[20:23], v2 offset:4288                      // 0000000032A8: DBFE10C0 14000002
	v_mfma_f32_16x16x32_fp8_fp8 v[68:71], a[56:57], a[0:1], v[68:71]// 0000000032B0: D3F30044 1D120138
	v_mfma_f32_16x16x32_fp8_fp8 v[68:71], a[58:59], a[2:3], v[68:71]// 0000000032B8: D3F30044 1D12053A
	buffer_load_dwordx4 a[36:39], v42, s[84:87], 0 offen offset:1024// 0000000032C0: E05C1400 8095242A
	v_mfma_f32_16x16x32_fp8_fp8 v[68:71], a[60:61], a[4:5], v[68:71]// 0000000032C8: D3F30044 1D12093C
	v_mfma_f32_16x16x32_fp8_fp8 v[68:71], a[62:63], a[6:7], v[68:71]// 0000000032D0: D3F30044 1D120D3E
	ds_read_b128 a[24:27], v2 offset:4736                      // 0000000032D8: DBFE1280 18000002
	ds_read_b128 a[28:31], v2 offset:4800                      // 0000000032E0: DBFE12C0 1C000002
	v_mfma_f32_16x16x32_fp8_fp8 v[64:67], a[48:49], a[8:9], v[64:67]// 0000000032E8: D3F30040 1D021130
	s_add_u32 s60, 0x180, s80                                  // 0000000032F0: 803C50FF 00000180
	s_cmp_lt_u32 s60, s81                                      // 0000000032F8: BF0A513C
	s_cselect_b32 s57, s57, 0                                  // 0000000032FC: 85398039
	v_mfma_f32_16x16x32_fp8_fp8 v[64:67], a[50:51], a[10:11], v[64:67]// 000000003300: D3F30040 1D021532
	buffer_load_dwordx4 a[40:43], v43, s[84:87], 0 offen       // 000000003308: E05C1000 8095282B
	s_add_u32 s60, 0x100, s80                                  // 000000003310: 803C50FF 00000100
	s_cmp_lt_u32 s60, s81                                      // 000000003318: BF0A513C
	s_cselect_b32 s58, s58, 0                                  // 00000000331C: 853A803A
	v_mfma_f32_16x16x32_fp8_fp8 v[64:67], a[52:53], a[12:13], v[64:67]// 000000003320: D3F30040 1D021934
	s_add_u32 s60, 0x100, s80                                  // 000000003328: 803C50FF 00000100
	s_cmp_lt_u32 s60, s81                                      // 000000003330: BF0A513C
	s_cselect_b32 s83, s83, 0                                  // 000000003334: 85538053
	v_mfma_f32_16x16x32_fp8_fp8 v[64:67], a[54:55], a[14:15], v[64:67]// 000000003338: D3F30040 1D021D36
	s_add_u32 s24, s58, s24                                    // 000000003340: 8018183A
	s_addc_u32 s25, 0, s25                                     // 000000003344: 82191980
	v_mfma_f32_16x16x32_fp8_fp8 v[72:75], a[56:57], a[8:9], v[72:75]// 000000003348: D3F30048 1D221138
	s_add_u32 s20, s57, s20                                    // 000000003350: 80141439
	s_addc_u32 s21, 0, s21                                     // 000000003354: 82151580
	v_mfma_f32_16x16x32_fp8_fp8 v[72:75], a[58:59], a[10:11], v[72:75]// 000000003358: D3F30048 1D22153A
	buffer_load_dwordx4 a[44:47], v43, s[84:87], 0 offen offset:1024// 000000003360: E05C1400 80952C2B
	s_add_u32 s84, s83, s84                                    // 000000003368: 80545453
	s_addc_u32 s85, 0, s85                                     // 00000000336C: 82555580
	v_mfma_f32_16x16x32_fp8_fp8 v[72:75], a[60:61], a[12:13], v[72:75]// 000000003370: D3F30048 1D22193C
	v_mfma_f32_16x16x32_fp8_fp8 v[72:75], a[62:63], a[14:15], v[72:75]// 000000003378: D3F30048 1D221D3E
	s_addk_i32 s80, 0x80                                       // 000000003380: B7500080
	s_cmp_lt_i32 s80, s81                                      // 000000003384: BF045150
	s_cbranch_scc0 label_04DF                                  // 000000003388: BF84027C
	s_waitcnt vmcnt(8) lgkmcnt(0)                              // 00000000338C: BF8C0078
	v_mfma_f32_16x16x32_fp8_fp8 v[44:47], a[64:65], a[16:17], v[44:47]// 000000003390: D3F3002C 1CB22140
	v_mfma_f32_16x16x32_fp8_fp8 v[44:47], a[66:67], a[18:19], v[44:47]// 000000003398: D3F3002C 1CB22542
	buffer_load_dwordx4 a[48:51], v42, s[24:27], 0 offen       // 0000000033A0: E05C1000 8086302A
	v_mfma_f32_16x16x32_fp8_fp8 v[44:47], a[68:69], a[20:21], v[44:47]// 0000000033A8: D3F3002C 1CB22944
	v_mfma_f32_16x16x32_fp8_fp8 v[44:47], a[70:71], a[22:23], v[44:47]// 0000000033B0: D3F3002C 1CB22D46
	v_mfma_f32_16x16x32_fp8_fp8 v[52:55], a[72:73], a[16:17], v[52:55]// 0000000033B8: D3F30034 1CD22148
	v_mfma_f32_16x16x32_fp8_fp8 v[52:55], a[74:75], a[18:19], v[52:55]// 0000000033C0: D3F30034 1CD2254A
	buffer_load_dwordx4 a[52:55], v42, s[24:27], 0 offen offset:1024// 0000000033C8: E05C1400 8086342A
	v_mfma_f32_16x16x32_fp8_fp8 v[52:55], a[76:77], a[20:21], v[52:55]// 0000000033D0: D3F30034 1CD2294C
	v_mfma_f32_16x16x32_fp8_fp8 v[52:55], a[78:79], a[22:23], v[52:55]// 0000000033D8: D3F30034 1CD22D4E
	v_mfma_f32_16x16x32_fp8_fp8 v[48:51], a[64:65], a[24:25], v[48:51]// 0000000033E0: D3F30030 1CC23140
	v_mfma_f32_16x16x32_fp8_fp8 v[48:51], a[66:67], a[26:27], v[48:51]// 0000000033E8: D3F30030 1CC23542
	buffer_load_dwordx4 a[56:59], v43, s[24:27], 0 offen       // 0000000033F0: E05C1000 8086382B
	v_mfma_f32_16x16x32_fp8_fp8 v[48:51], a[68:69], a[28:29], v[48:51]// 0000000033F8: D3F30030 1CC23944
	v_mfma_f32_16x16x32_fp8_fp8 v[48:51], a[70:71], a[30:31], v[48:51]// 000000003400: D3F30030 1CC23D46
	v_mfma_f32_16x16x32_fp8_fp8 v[56:59], a[72:73], a[24:25], v[56:59]// 000000003408: D3F30038 1CE23148
	v_mfma_f32_16x16x32_fp8_fp8 v[56:59], a[74:75], a[26:27], v[56:59]// 000000003410: D3F30038 1CE2354A
	buffer_load_dwordx4 a[60:63], v43, s[24:27], 0 offen offset:1024// 000000003418: E05C1400 80863C2B
	buffer_load_dword v38, s[20:23], 0 offen lds               // 000000003420: E0511000 80050026
	s_add_u32 m0, 0x100, s48                                   // 000000003428: 807C30FF 00000100
	v_mfma_f32_16x16x32_fp8_fp8 v[56:59], a[76:77], a[28:29], v[56:59]// 000000003430: D3F30038 1CE2394C
	v_mfma_f32_16x16x32_fp8_fp8 v[56:59], a[78:79], a[30:31], v[56:59]// 000000003438: D3F30038 1CE23D4E
	buffer_load_dword v39, s[20:23], 0 offen lds               // 000000003440: E0511000 80050027
	s_add_u32 m0, 0x200, s48                                   // 000000003448: 807C30FF 00000200
	buffer_load_dword v40, s[20:23], 0 offen lds               // 000000003450: E0511000 80050028
	s_add_u32 m0, 0x300, s48                                   // 000000003458: 807C30FF 00000300
	buffer_load_dword v41, s[20:23], 0 offen lds               // 000000003460: E0511000 80050029
	s_add_u32 m0, 0, s49                                       // 000000003468: 807C3180
	s_waitcnt vmcnt(8)                                         // 00000000346C: BF8C0F78
	s_barrier                                                  // 000000003470: BF8A0000
	v_mfma_f32_16x16x32_fp8_fp8 v[60:63], a[32:33], a[16:17], v[60:63]// 000000003474: D3F3003C 1CF22120
	v_mfma_f32_16x16x32_fp8_fp8 v[60:63], a[34:35], a[18:19], v[60:63]// 00000000347C: D3F3003C 1CF22522
	buffer_load_dwordx4 a[64:67], v42, s[84:87], 0 offen       // 000000003484: E05C1000 8095402A
	v_mfma_f32_16x16x32_fp8_fp8 v[60:63], a[36:37], a[20:21], v[60:63]// 00000000348C: D3F3003C 1CF22924
	v_mfma_f32_16x16x32_fp8_fp8 v[60:63], a[38:39], a[22:23], v[60:63]// 000000003494: D3F3003C 1CF22D26
	ds_read_b128 a[0:3], v2 offset:8448                        // 00000000349C: DBFE2100 00000002
	ds_read_b128 a[4:7], v2 offset:8512                        // 0000000034A4: DBFE2140 04000002
	v_mfma_f32_16x16x32_fp8_fp8 v[68:71], a[40:41], a[16:17], v[68:71]// 0000000034AC: D3F30044 1D122128
	v_mfma_f32_16x16x32_fp8_fp8 v[68:71], a[42:43], a[18:19], v[68:71]// 0000000034B4: D3F30044 1D12252A
	buffer_load_dwordx4 a[68:71], v42, s[84:87], 0 offen offset:1024// 0000000034BC: E05C1400 8095442A
	v_mfma_f32_16x16x32_fp8_fp8 v[68:71], a[44:45], a[20:21], v[68:71]// 0000000034C4: D3F30044 1D12292C
	v_mfma_f32_16x16x32_fp8_fp8 v[68:71], a[46:47], a[22:23], v[68:71]// 0000000034CC: D3F30044 1D122D2E
	ds_read_b128 a[8:11], v2 offset:8960                       // 0000000034D4: DBFE2300 08000002
	ds_read_b128 a[12:15], v2 offset:9024                      // 0000000034DC: DBFE2340 0C000002
	v_mfma_f32_16x16x32_fp8_fp8 v[64:67], a[32:33], a[24:25], v[64:67]// 0000000034E4: D3F30040 1D023120
	s_add_u32 s60, 0x180, s80                                  // 0000000034EC: 803C50FF 00000180
	s_cmp_lt_u32 s60, s81                                      // 0000000034F4: BF0A513C
	s_cselect_b32 s57, s57, 0                                  // 0000000034F8: 85398039
	v_mfma_f32_16x16x32_fp8_fp8 v[64:67], a[34:35], a[26:27], v[64:67]// 0000000034FC: D3F30040 1D023522
	buffer_load_dwordx4 a[72:75], v43, s[84:87], 0 offen       // 000000003504: E05C1000 8095482B
	s_add_u32 s60, 0x100, s80                                  // 00000000350C: 803C50FF 00000100
	s_cmp_lt_u32 s60, s81                                      // 000000003514: BF0A513C
	s_cselect_b32 s58, s58, 0                                  // 000000003518: 853A803A
	v_mfma_f32_16x16x32_fp8_fp8 v[64:67], a[36:37], a[28:29], v[64:67]// 00000000351C: D3F30040 1D023924
	s_add_u32 s60, 0x100, s80                                  // 000000003524: 803C50FF 00000100
	s_cmp_lt_u32 s60, s81                                      // 00000000352C: BF0A513C
	s_cselect_b32 s83, s83, 0                                  // 000000003530: 85538053
	v_mfma_f32_16x16x32_fp8_fp8 v[64:67], a[38:39], a[30:31], v[64:67]// 000000003534: D3F30040 1D023D26
	s_add_u32 s24, s58, s24                                    // 00000000353C: 8018183A
	s_addc_u32 s25, 0, s25                                     // 000000003540: 82191980
	v_mfma_f32_16x16x32_fp8_fp8 v[72:75], a[40:41], a[24:25], v[72:75]// 000000003544: D3F30048 1D223128
	s_add_u32 s20, s57, s20                                    // 00000000354C: 80141439
	s_addc_u32 s21, 0, s21                                     // 000000003550: 82151580
	v_mfma_f32_16x16x32_fp8_fp8 v[72:75], a[42:43], a[26:27], v[72:75]// 000000003554: D3F30048 1D22352A
	buffer_load_dwordx4 a[76:79], v43, s[84:87], 0 offen offset:1024// 00000000355C: E05C1400 80954C2B
	s_add_u32 s84, s83, s84                                    // 000000003564: 80545453
	s_addc_u32 s85, 0, s85                                     // 000000003568: 82555580
	v_mfma_f32_16x16x32_fp8_fp8 v[72:75], a[44:45], a[28:29], v[72:75]// 00000000356C: D3F30048 1D22392C
	v_mfma_f32_16x16x32_fp8_fp8 v[72:75], a[46:47], a[30:31], v[72:75]// 000000003574: D3F30048 1D223D2E
	s_addk_i32 s80, 0x80                                       // 00000000357C: B7500080
	s_cmp_lt_i32 s80, s81                                      // 000000003580: BF045150
	s_cbranch_scc0 label_04DF                                  // 000000003584: BF8401FD
	s_waitcnt vmcnt(8) lgkmcnt(0)                              // 000000003588: BF8C0078
	v_mfma_f32_16x16x32_fp8_fp8 v[44:47], a[48:49], a[0:1], v[44:47]// 00000000358C: D3F3002C 1CB20130
	v_mfma_f32_16x16x32_fp8_fp8 v[44:47], a[50:51], a[2:3], v[44:47]// 000000003594: D3F3002C 1CB20532
	buffer_load_dwordx4 a[32:35], v42, s[24:27], 0 offen       // 00000000359C: E05C1000 8086202A
	v_mfma_f32_16x16x32_fp8_fp8 v[44:47], a[52:53], a[4:5], v[44:47]// 0000000035A4: D3F3002C 1CB20934
	v_mfma_f32_16x16x32_fp8_fp8 v[44:47], a[54:55], a[6:7], v[44:47]// 0000000035AC: D3F3002C 1CB20D36
	v_mfma_f32_16x16x32_fp8_fp8 v[52:55], a[56:57], a[0:1], v[52:55]// 0000000035B4: D3F30034 1CD20138
	v_mfma_f32_16x16x32_fp8_fp8 v[52:55], a[58:59], a[2:3], v[52:55]// 0000000035BC: D3F30034 1CD2053A
	buffer_load_dwordx4 a[36:39], v42, s[24:27], 0 offen offset:1024// 0000000035C4: E05C1400 8086242A
	v_mfma_f32_16x16x32_fp8_fp8 v[52:55], a[60:61], a[4:5], v[52:55]// 0000000035CC: D3F30034 1CD2093C
	v_mfma_f32_16x16x32_fp8_fp8 v[52:55], a[62:63], a[6:7], v[52:55]// 0000000035D4: D3F30034 1CD20D3E
	v_mfma_f32_16x16x32_fp8_fp8 v[48:51], a[48:49], a[8:9], v[48:51]// 0000000035DC: D3F30030 1CC21130
	v_mfma_f32_16x16x32_fp8_fp8 v[48:51], a[50:51], a[10:11], v[48:51]// 0000000035E4: D3F30030 1CC21532
	buffer_load_dwordx4 a[40:43], v43, s[24:27], 0 offen       // 0000000035EC: E05C1000 8086282B
	v_mfma_f32_16x16x32_fp8_fp8 v[48:51], a[52:53], a[12:13], v[48:51]// 0000000035F4: D3F30030 1CC21934
	v_mfma_f32_16x16x32_fp8_fp8 v[48:51], a[54:55], a[14:15], v[48:51]// 0000000035FC: D3F30030 1CC21D36
	v_mfma_f32_16x16x32_fp8_fp8 v[56:59], a[56:57], a[8:9], v[56:59]// 000000003604: D3F30038 1CE21138
	v_mfma_f32_16x16x32_fp8_fp8 v[56:59], a[58:59], a[10:11], v[56:59]// 00000000360C: D3F30038 1CE2153A
	buffer_load_dwordx4 a[44:47], v43, s[24:27], 0 offen offset:1024// 000000003614: E05C1400 80862C2B
	buffer_load_dword v38, s[20:23], 0 offen lds               // 00000000361C: E0511000 80050026
	s_add_u32 m0, 0x100, s49                                   // 000000003624: 807C31FF 00000100
	v_mfma_f32_16x16x32_fp8_fp8 v[56:59], a[60:61], a[12:13], v[56:59]// 00000000362C: D3F30038 1CE2193C
	v_mfma_f32_16x16x32_fp8_fp8 v[56:59], a[62:63], a[14:15], v[56:59]// 000000003634: D3F30038 1CE21D3E
	buffer_load_dword v39, s[20:23], 0 offen lds               // 00000000363C: E0511000 80050027
	s_add_u32 m0, 0x200, s49                                   // 000000003644: 807C31FF 00000200
	buffer_load_dword v40, s[20:23], 0 offen lds               // 00000000364C: E0511000 80050028
	s_add_u32 m0, 0x300, s49                                   // 000000003654: 807C31FF 00000300
	buffer_load_dword v41, s[20:23], 0 offen lds               // 00000000365C: E0511000 80050029
	s_add_u32 m0, 0, s50                                       // 000000003664: 807C3280
	s_waitcnt vmcnt(8)                                         // 000000003668: BF8C0F78
	s_barrier                                                  // 00000000366C: BF8A0000
	v_mfma_f32_16x16x32_fp8_fp8 v[60:63], a[64:65], a[0:1], v[60:63]// 000000003670: D3F3003C 1CF20140
	v_mfma_f32_16x16x32_fp8_fp8 v[60:63], a[66:67], a[2:3], v[60:63]// 000000003678: D3F3003C 1CF20542
	buffer_load_dwordx4 a[48:51], v42, s[84:87], 0 offen       // 000000003680: E05C1000 8095302A
	v_mfma_f32_16x16x32_fp8_fp8 v[60:63], a[68:69], a[4:5], v[60:63]// 000000003688: D3F3003C 1CF20944
	v_mfma_f32_16x16x32_fp8_fp8 v[60:63], a[70:71], a[6:7], v[60:63]// 000000003690: D3F3003C 1CF20D46
	ds_read_b128 a[16:19], v2                                  // 000000003698: DBFE0000 10000002
	ds_read_b128 a[20:23], v2 offset:64                        // 0000000036A0: DBFE0040 14000002
	v_mfma_f32_16x16x32_fp8_fp8 v[68:71], a[72:73], a[0:1], v[68:71]// 0000000036A8: D3F30044 1D120148
	v_mfma_f32_16x16x32_fp8_fp8 v[68:71], a[74:75], a[2:3], v[68:71]// 0000000036B0: D3F30044 1D12054A
	buffer_load_dwordx4 a[52:55], v42, s[84:87], 0 offen offset:1024// 0000000036B8: E05C1400 8095342A
	v_mfma_f32_16x16x32_fp8_fp8 v[68:71], a[76:77], a[4:5], v[68:71]// 0000000036C0: D3F30044 1D12094C
	v_mfma_f32_16x16x32_fp8_fp8 v[68:71], a[78:79], a[6:7], v[68:71]// 0000000036C8: D3F30044 1D120D4E
	ds_read_b128 a[24:27], v2 offset:512                       // 0000000036D0: DBFE0200 18000002
	ds_read_b128 a[28:31], v2 offset:576                       // 0000000036D8: DBFE0240 1C000002
	v_mfma_f32_16x16x32_fp8_fp8 v[64:67], a[64:65], a[8:9], v[64:67]// 0000000036E0: D3F30040 1D021140
	s_add_u32 s60, 0x180, s80                                  // 0000000036E8: 803C50FF 00000180
	s_cmp_lt_u32 s60, s81                                      // 0000000036F0: BF0A513C
	s_cselect_b32 s57, s57, 0                                  // 0000000036F4: 85398039
	v_mfma_f32_16x16x32_fp8_fp8 v[64:67], a[66:67], a[10:11], v[64:67]// 0000000036F8: D3F30040 1D021542
	buffer_load_dwordx4 a[56:59], v43, s[84:87], 0 offen       // 000000003700: E05C1000 8095382B
	s_add_u32 s60, 0x100, s80                                  // 000000003708: 803C50FF 00000100
	s_cmp_lt_u32 s60, s81                                      // 000000003710: BF0A513C
	s_cselect_b32 s58, s58, 0                                  // 000000003714: 853A803A
	v_mfma_f32_16x16x32_fp8_fp8 v[64:67], a[68:69], a[12:13], v[64:67]// 000000003718: D3F30040 1D021944
	s_add_u32 s60, 0x100, s80                                  // 000000003720: 803C50FF 00000100
	s_cmp_lt_u32 s60, s81                                      // 000000003728: BF0A513C
	s_cselect_b32 s83, s83, 0                                  // 00000000372C: 85538053
	v_mfma_f32_16x16x32_fp8_fp8 v[64:67], a[70:71], a[14:15], v[64:67]// 000000003730: D3F30040 1D021D46
	s_add_u32 s24, s58, s24                                    // 000000003738: 8018183A
	s_addc_u32 s25, 0, s25                                     // 00000000373C: 82191980
	v_mfma_f32_16x16x32_fp8_fp8 v[72:75], a[72:73], a[8:9], v[72:75]// 000000003740: D3F30048 1D221148
	s_add_u32 s20, s57, s20                                    // 000000003748: 80141439
	s_addc_u32 s21, 0, s21                                     // 00000000374C: 82151580
	v_mfma_f32_16x16x32_fp8_fp8 v[72:75], a[74:75], a[10:11], v[72:75]// 000000003750: D3F30048 1D22154A
	buffer_load_dwordx4 a[60:63], v43, s[84:87], 0 offen offset:1024// 000000003758: E05C1400 80953C2B
	s_add_u32 s84, s83, s84                                    // 000000003760: 80545453
	s_addc_u32 s85, 0, s85                                     // 000000003764: 82555580
	v_mfma_f32_16x16x32_fp8_fp8 v[72:75], a[76:77], a[12:13], v[72:75]// 000000003768: D3F30048 1D22194C
	v_mfma_f32_16x16x32_fp8_fp8 v[72:75], a[78:79], a[14:15], v[72:75]// 000000003770: D3F30048 1D221D4E
	s_addk_i32 s80, 0x80                                       // 000000003778: B7500080
	s_cmp_lt_i32 s80, s81                                      // 00000000377C: BF045150
	s_cbranch_scc0 label_04DF                                  // 000000003780: BF84017E
	s_waitcnt vmcnt(8) lgkmcnt(0)                              // 000000003784: BF8C0078
	v_mfma_f32_16x16x32_fp8_fp8 v[44:47], a[32:33], a[16:17], v[44:47]// 000000003788: D3F3002C 1CB22120
	v_mfma_f32_16x16x32_fp8_fp8 v[44:47], a[34:35], a[18:19], v[44:47]// 000000003790: D3F3002C 1CB22522
	buffer_load_dwordx4 a[64:67], v42, s[24:27], 0 offen       // 000000003798: E05C1000 8086402A
	v_mfma_f32_16x16x32_fp8_fp8 v[44:47], a[36:37], a[20:21], v[44:47]// 0000000037A0: D3F3002C 1CB22924
	v_mfma_f32_16x16x32_fp8_fp8 v[44:47], a[38:39], a[22:23], v[44:47]// 0000000037A8: D3F3002C 1CB22D26
	v_mfma_f32_16x16x32_fp8_fp8 v[52:55], a[40:41], a[16:17], v[52:55]// 0000000037B0: D3F30034 1CD22128
	v_mfma_f32_16x16x32_fp8_fp8 v[52:55], a[42:43], a[18:19], v[52:55]// 0000000037B8: D3F30034 1CD2252A
	buffer_load_dwordx4 a[68:71], v42, s[24:27], 0 offen offset:1024// 0000000037C0: E05C1400 8086442A
	v_mfma_f32_16x16x32_fp8_fp8 v[52:55], a[44:45], a[20:21], v[52:55]// 0000000037C8: D3F30034 1CD2292C
	v_mfma_f32_16x16x32_fp8_fp8 v[52:55], a[46:47], a[22:23], v[52:55]// 0000000037D0: D3F30034 1CD22D2E
	v_mfma_f32_16x16x32_fp8_fp8 v[48:51], a[32:33], a[24:25], v[48:51]// 0000000037D8: D3F30030 1CC23120
	v_mfma_f32_16x16x32_fp8_fp8 v[48:51], a[34:35], a[26:27], v[48:51]// 0000000037E0: D3F30030 1CC23522
	buffer_load_dwordx4 a[72:75], v43, s[24:27], 0 offen       // 0000000037E8: E05C1000 8086482B
	v_mfma_f32_16x16x32_fp8_fp8 v[48:51], a[36:37], a[28:29], v[48:51]// 0000000037F0: D3F30030 1CC23924
	v_mfma_f32_16x16x32_fp8_fp8 v[48:51], a[38:39], a[30:31], v[48:51]// 0000000037F8: D3F30030 1CC23D26
	v_mfma_f32_16x16x32_fp8_fp8 v[56:59], a[40:41], a[24:25], v[56:59]// 000000003800: D3F30038 1CE23128
	v_mfma_f32_16x16x32_fp8_fp8 v[56:59], a[42:43], a[26:27], v[56:59]// 000000003808: D3F30038 1CE2352A
	buffer_load_dwordx4 a[76:79], v43, s[24:27], 0 offen offset:1024// 000000003810: E05C1400 80864C2B
	buffer_load_dword v38, s[20:23], 0 offen lds               // 000000003818: E0511000 80050026
	s_add_u32 m0, 0x100, s50                                   // 000000003820: 807C32FF 00000100
	v_mfma_f32_16x16x32_fp8_fp8 v[56:59], a[44:45], a[28:29], v[56:59]// 000000003828: D3F30038 1CE2392C
	v_mfma_f32_16x16x32_fp8_fp8 v[56:59], a[46:47], a[30:31], v[56:59]// 000000003830: D3F30038 1CE23D2E
	buffer_load_dword v39, s[20:23], 0 offen lds               // 000000003838: E0511000 80050027
	s_add_u32 m0, 0x200, s50                                   // 000000003840: 807C32FF 00000200
	buffer_load_dword v40, s[20:23], 0 offen lds               // 000000003848: E0511000 80050028
	s_add_u32 m0, 0x300, s50                                   // 000000003850: 807C32FF 00000300
	buffer_load_dword v41, s[20:23], 0 offen lds               // 000000003858: E0511000 80050029
	s_add_u32 m0, 0, s48                                       // 000000003860: 807C3080
	s_waitcnt vmcnt(8)                                         // 000000003864: BF8C0F78
	s_barrier                                                  // 000000003868: BF8A0000
	v_mfma_f32_16x16x32_fp8_fp8 v[60:63], a[48:49], a[16:17], v[60:63]// 00000000386C: D3F3003C 1CF22130
	v_mfma_f32_16x16x32_fp8_fp8 v[60:63], a[50:51], a[18:19], v[60:63]// 000000003874: D3F3003C 1CF22532
	buffer_load_dwordx4 a[32:35], v42, s[84:87], 0 offen       // 00000000387C: E05C1000 8095202A
	v_mfma_f32_16x16x32_fp8_fp8 v[60:63], a[52:53], a[20:21], v[60:63]// 000000003884: D3F3003C 1CF22934
	v_mfma_f32_16x16x32_fp8_fp8 v[60:63], a[54:55], a[22:23], v[60:63]// 00000000388C: D3F3003C 1CF22D36
	ds_read_b128 a[0:3], v2 offset:4224                        // 000000003894: DBFE1080 00000002
	ds_read_b128 a[4:7], v2 offset:4288                        // 00000000389C: DBFE10C0 04000002
	v_mfma_f32_16x16x32_fp8_fp8 v[68:71], a[56:57], a[16:17], v[68:71]// 0000000038A4: D3F30044 1D122138
	v_mfma_f32_16x16x32_fp8_fp8 v[68:71], a[58:59], a[18:19], v[68:71]// 0000000038AC: D3F30044 1D12253A
	buffer_load_dwordx4 a[36:39], v42, s[84:87], 0 offen offset:1024// 0000000038B4: E05C1400 8095242A
	v_mfma_f32_16x16x32_fp8_fp8 v[68:71], a[60:61], a[20:21], v[68:71]// 0000000038BC: D3F30044 1D12293C
	v_mfma_f32_16x16x32_fp8_fp8 v[68:71], a[62:63], a[22:23], v[68:71]// 0000000038C4: D3F30044 1D122D3E
	ds_read_b128 a[8:11], v2 offset:4736                       // 0000000038CC: DBFE1280 08000002
	ds_read_b128 a[12:15], v2 offset:4800                      // 0000000038D4: DBFE12C0 0C000002
	v_mfma_f32_16x16x32_fp8_fp8 v[64:67], a[48:49], a[24:25], v[64:67]// 0000000038DC: D3F30040 1D023130
	s_add_u32 s60, 0x180, s80                                  // 0000000038E4: 803C50FF 00000180
	s_cmp_lt_u32 s60, s81                                      // 0000000038EC: BF0A513C
	s_cselect_b32 s57, s57, 0                                  // 0000000038F0: 85398039
	v_mfma_f32_16x16x32_fp8_fp8 v[64:67], a[50:51], a[26:27], v[64:67]// 0000000038F4: D3F30040 1D023532
	buffer_load_dwordx4 a[40:43], v43, s[84:87], 0 offen       // 0000000038FC: E05C1000 8095282B
	s_add_u32 s60, 0x100, s80                                  // 000000003904: 803C50FF 00000100
	s_cmp_lt_u32 s60, s81                                      // 00000000390C: BF0A513C
	s_cselect_b32 s58, s58, 0                                  // 000000003910: 853A803A
	v_mfma_f32_16x16x32_fp8_fp8 v[64:67], a[52:53], a[28:29], v[64:67]// 000000003914: D3F30040 1D023934
	s_add_u32 s60, 0x100, s80                                  // 00000000391C: 803C50FF 00000100
	s_cmp_lt_u32 s60, s81                                      // 000000003924: BF0A513C
	s_cselect_b32 s83, s83, 0                                  // 000000003928: 85538053
	v_mfma_f32_16x16x32_fp8_fp8 v[64:67], a[54:55], a[30:31], v[64:67]// 00000000392C: D3F30040 1D023D36
	s_add_u32 s24, s58, s24                                    // 000000003934: 8018183A
	s_addc_u32 s25, 0, s25                                     // 000000003938: 82191980
	v_mfma_f32_16x16x32_fp8_fp8 v[72:75], a[56:57], a[24:25], v[72:75]// 00000000393C: D3F30048 1D223138
	s_add_u32 s20, s57, s20                                    // 000000003944: 80141439
	s_addc_u32 s21, 0, s21                                     // 000000003948: 82151580
	v_mfma_f32_16x16x32_fp8_fp8 v[72:75], a[58:59], a[26:27], v[72:75]// 00000000394C: D3F30048 1D22353A
	buffer_load_dwordx4 a[44:47], v43, s[84:87], 0 offen offset:1024// 000000003954: E05C1400 80952C2B
	s_add_u32 s84, s83, s84                                    // 00000000395C: 80545453
	s_addc_u32 s85, 0, s85                                     // 000000003960: 82555580
	v_mfma_f32_16x16x32_fp8_fp8 v[72:75], a[60:61], a[28:29], v[72:75]// 000000003964: D3F30048 1D22393C
	v_mfma_f32_16x16x32_fp8_fp8 v[72:75], a[62:63], a[30:31], v[72:75]// 00000000396C: D3F30048 1D223D3E
	s_addk_i32 s80, 0x80                                       // 000000003974: B7500080
	s_cmp_lt_i32 s80, s81                                      // 000000003978: BF045150
	s_cbranch_scc0 label_04DF                                  // 00000000397C: BF8400FF
	s_waitcnt vmcnt(8) lgkmcnt(0)                              // 000000003980: BF8C0078
	v_mfma_f32_16x16x32_fp8_fp8 v[44:47], a[64:65], a[0:1], v[44:47]// 000000003984: D3F3002C 1CB20140
	v_mfma_f32_16x16x32_fp8_fp8 v[44:47], a[66:67], a[2:3], v[44:47]// 00000000398C: D3F3002C 1CB20542
	buffer_load_dwordx4 a[48:51], v42, s[24:27], 0 offen       // 000000003994: E05C1000 8086302A
	v_mfma_f32_16x16x32_fp8_fp8 v[44:47], a[68:69], a[4:5], v[44:47]// 00000000399C: D3F3002C 1CB20944
	v_mfma_f32_16x16x32_fp8_fp8 v[44:47], a[70:71], a[6:7], v[44:47]// 0000000039A4: D3F3002C 1CB20D46
	v_mfma_f32_16x16x32_fp8_fp8 v[52:55], a[72:73], a[0:1], v[52:55]// 0000000039AC: D3F30034 1CD20148
	v_mfma_f32_16x16x32_fp8_fp8 v[52:55], a[74:75], a[2:3], v[52:55]// 0000000039B4: D3F30034 1CD2054A
	buffer_load_dwordx4 a[52:55], v42, s[24:27], 0 offen offset:1024// 0000000039BC: E05C1400 8086342A
	v_mfma_f32_16x16x32_fp8_fp8 v[52:55], a[76:77], a[4:5], v[52:55]// 0000000039C4: D3F30034 1CD2094C
	v_mfma_f32_16x16x32_fp8_fp8 v[52:55], a[78:79], a[6:7], v[52:55]// 0000000039CC: D3F30034 1CD20D4E
	v_mfma_f32_16x16x32_fp8_fp8 v[48:51], a[64:65], a[8:9], v[48:51]// 0000000039D4: D3F30030 1CC21140
	v_mfma_f32_16x16x32_fp8_fp8 v[48:51], a[66:67], a[10:11], v[48:51]// 0000000039DC: D3F30030 1CC21542
	buffer_load_dwordx4 a[56:59], v43, s[24:27], 0 offen       // 0000000039E4: E05C1000 8086382B
	v_mfma_f32_16x16x32_fp8_fp8 v[48:51], a[68:69], a[12:13], v[48:51]// 0000000039EC: D3F30030 1CC21944
	v_mfma_f32_16x16x32_fp8_fp8 v[48:51], a[70:71], a[14:15], v[48:51]// 0000000039F4: D3F30030 1CC21D46
	v_mfma_f32_16x16x32_fp8_fp8 v[56:59], a[72:73], a[8:9], v[56:59]// 0000000039FC: D3F30038 1CE21148
	v_mfma_f32_16x16x32_fp8_fp8 v[56:59], a[74:75], a[10:11], v[56:59]// 000000003A04: D3F30038 1CE2154A
	buffer_load_dwordx4 a[60:63], v43, s[24:27], 0 offen offset:1024// 000000003A0C: E05C1400 80863C2B
	buffer_load_dword v38, s[20:23], 0 offen lds               // 000000003A14: E0511000 80050026
	s_add_u32 m0, 0x100, s48                                   // 000000003A1C: 807C30FF 00000100
	v_mfma_f32_16x16x32_fp8_fp8 v[56:59], a[76:77], a[12:13], v[56:59]// 000000003A24: D3F30038 1CE2194C
	v_mfma_f32_16x16x32_fp8_fp8 v[56:59], a[78:79], a[14:15], v[56:59]// 000000003A2C: D3F30038 1CE21D4E
	buffer_load_dword v39, s[20:23], 0 offen lds               // 000000003A34: E0511000 80050027
	s_add_u32 m0, 0x200, s48                                   // 000000003A3C: 807C30FF 00000200
	buffer_load_dword v40, s[20:23], 0 offen lds               // 000000003A44: E0511000 80050028
	s_add_u32 m0, 0x300, s48                                   // 000000003A4C: 807C30FF 00000300
	buffer_load_dword v41, s[20:23], 0 offen lds               // 000000003A54: E0511000 80050029
	s_add_u32 m0, 0, s49                                       // 000000003A5C: 807C3180
	s_waitcnt vmcnt(8)                                         // 000000003A60: BF8C0F78
	s_barrier                                                  // 000000003A64: BF8A0000
	v_mfma_f32_16x16x32_fp8_fp8 v[60:63], a[32:33], a[0:1], v[60:63]// 000000003A68: D3F3003C 1CF20120
	v_mfma_f32_16x16x32_fp8_fp8 v[60:63], a[34:35], a[2:3], v[60:63]// 000000003A70: D3F3003C 1CF20522
	buffer_load_dwordx4 a[64:67], v42, s[84:87], 0 offen       // 000000003A78: E05C1000 8095402A
	v_mfma_f32_16x16x32_fp8_fp8 v[60:63], a[36:37], a[4:5], v[60:63]// 000000003A80: D3F3003C 1CF20924
	v_mfma_f32_16x16x32_fp8_fp8 v[60:63], a[38:39], a[6:7], v[60:63]// 000000003A88: D3F3003C 1CF20D26
	ds_read_b128 a[16:19], v2 offset:8448                      // 000000003A90: DBFE2100 10000002
	ds_read_b128 a[20:23], v2 offset:8512                      // 000000003A98: DBFE2140 14000002
	v_mfma_f32_16x16x32_fp8_fp8 v[68:71], a[40:41], a[0:1], v[68:71]// 000000003AA0: D3F30044 1D120128
	v_mfma_f32_16x16x32_fp8_fp8 v[68:71], a[42:43], a[2:3], v[68:71]// 000000003AA8: D3F30044 1D12052A
	buffer_load_dwordx4 a[68:71], v42, s[84:87], 0 offen offset:1024// 000000003AB0: E05C1400 8095442A
	v_mfma_f32_16x16x32_fp8_fp8 v[68:71], a[44:45], a[4:5], v[68:71]// 000000003AB8: D3F30044 1D12092C
	v_mfma_f32_16x16x32_fp8_fp8 v[68:71], a[46:47], a[6:7], v[68:71]// 000000003AC0: D3F30044 1D120D2E
	ds_read_b128 a[24:27], v2 offset:8960                      // 000000003AC8: DBFE2300 18000002
	ds_read_b128 a[28:31], v2 offset:9024                      // 000000003AD0: DBFE2340 1C000002
	v_mfma_f32_16x16x32_fp8_fp8 v[64:67], a[32:33], a[8:9], v[64:67]// 000000003AD8: D3F30040 1D021120
	s_add_u32 s60, 0x180, s80                                  // 000000003AE0: 803C50FF 00000180
	s_cmp_lt_u32 s60, s81                                      // 000000003AE8: BF0A513C
	s_cselect_b32 s57, s57, 0                                  // 000000003AEC: 85398039
	v_mfma_f32_16x16x32_fp8_fp8 v[64:67], a[34:35], a[10:11], v[64:67]// 000000003AF0: D3F30040 1D021522
	buffer_load_dwordx4 a[72:75], v43, s[84:87], 0 offen       // 000000003AF8: E05C1000 8095482B
	s_add_u32 s60, 0x100, s80                                  // 000000003B00: 803C50FF 00000100
	s_cmp_lt_u32 s60, s81                                      // 000000003B08: BF0A513C
	s_cselect_b32 s58, s58, 0                                  // 000000003B0C: 853A803A
	v_mfma_f32_16x16x32_fp8_fp8 v[64:67], a[36:37], a[12:13], v[64:67]// 000000003B10: D3F30040 1D021924
	s_add_u32 s60, 0x100, s80                                  // 000000003B18: 803C50FF 00000100
	s_cmp_lt_u32 s60, s81                                      // 000000003B20: BF0A513C
	s_cselect_b32 s83, s83, 0                                  // 000000003B24: 85538053
	v_mfma_f32_16x16x32_fp8_fp8 v[64:67], a[38:39], a[14:15], v[64:67]// 000000003B28: D3F30040 1D021D26
	s_add_u32 s24, s58, s24                                    // 000000003B30: 8018183A
	s_addc_u32 s25, 0, s25                                     // 000000003B34: 82191980
	v_mfma_f32_16x16x32_fp8_fp8 v[72:75], a[40:41], a[8:9], v[72:75]// 000000003B38: D3F30048 1D221128
	s_add_u32 s20, s57, s20                                    // 000000003B40: 80141439
	s_addc_u32 s21, 0, s21                                     // 000000003B44: 82151580
	v_mfma_f32_16x16x32_fp8_fp8 v[72:75], a[42:43], a[10:11], v[72:75]// 000000003B48: D3F30048 1D22152A
	buffer_load_dwordx4 a[76:79], v43, s[84:87], 0 offen offset:1024// 000000003B50: E05C1400 80954C2B
	s_add_u32 s84, s83, s84                                    // 000000003B58: 80545453
	s_addc_u32 s85, 0, s85                                     // 000000003B5C: 82555580
	v_mfma_f32_16x16x32_fp8_fp8 v[72:75], a[44:45], a[12:13], v[72:75]// 000000003B60: D3F30048 1D22192C
	v_mfma_f32_16x16x32_fp8_fp8 v[72:75], a[46:47], a[14:15], v[72:75]// 000000003B68: D3F30048 1D221D2E
	s_addk_i32 s80, 0x80                                       // 000000003B70: B7500080
	s_cmp_lt_i32 s80, s81                                      // 000000003B74: BF045150
	s_cbranch_scc0 label_04DF                                  // 000000003B78: BF840080
	s_waitcnt vmcnt(8) lgkmcnt(0)                              // 000000003B7C: BF8C0078
	v_mfma_f32_16x16x32_fp8_fp8 v[44:47], a[48:49], a[16:17], v[44:47]// 000000003B80: D3F3002C 1CB22130
	v_mfma_f32_16x16x32_fp8_fp8 v[44:47], a[50:51], a[18:19], v[44:47]// 000000003B88: D3F3002C 1CB22532
	buffer_load_dwordx4 a[32:35], v42, s[24:27], 0 offen       // 000000003B90: E05C1000 8086202A
	v_mfma_f32_16x16x32_fp8_fp8 v[44:47], a[52:53], a[20:21], v[44:47]// 000000003B98: D3F3002C 1CB22934
	v_mfma_f32_16x16x32_fp8_fp8 v[44:47], a[54:55], a[22:23], v[44:47]// 000000003BA0: D3F3002C 1CB22D36
	v_mfma_f32_16x16x32_fp8_fp8 v[52:55], a[56:57], a[16:17], v[52:55]// 000000003BA8: D3F30034 1CD22138
	v_mfma_f32_16x16x32_fp8_fp8 v[52:55], a[58:59], a[18:19], v[52:55]// 000000003BB0: D3F30034 1CD2253A
	buffer_load_dwordx4 a[36:39], v42, s[24:27], 0 offen offset:1024// 000000003BB8: E05C1400 8086242A
	v_mfma_f32_16x16x32_fp8_fp8 v[52:55], a[60:61], a[20:21], v[52:55]// 000000003BC0: D3F30034 1CD2293C
	v_mfma_f32_16x16x32_fp8_fp8 v[52:55], a[62:63], a[22:23], v[52:55]// 000000003BC8: D3F30034 1CD22D3E
	v_mfma_f32_16x16x32_fp8_fp8 v[48:51], a[48:49], a[24:25], v[48:51]// 000000003BD0: D3F30030 1CC23130
	v_mfma_f32_16x16x32_fp8_fp8 v[48:51], a[50:51], a[26:27], v[48:51]// 000000003BD8: D3F30030 1CC23532
	buffer_load_dwordx4 a[40:43], v43, s[24:27], 0 offen       // 000000003BE0: E05C1000 8086282B
	v_mfma_f32_16x16x32_fp8_fp8 v[48:51], a[52:53], a[28:29], v[48:51]// 000000003BE8: D3F30030 1CC23934
	v_mfma_f32_16x16x32_fp8_fp8 v[48:51], a[54:55], a[30:31], v[48:51]// 000000003BF0: D3F30030 1CC23D36
	v_mfma_f32_16x16x32_fp8_fp8 v[56:59], a[56:57], a[24:25], v[56:59]// 000000003BF8: D3F30038 1CE23138
	v_mfma_f32_16x16x32_fp8_fp8 v[56:59], a[58:59], a[26:27], v[56:59]// 000000003C00: D3F30038 1CE2353A
	buffer_load_dwordx4 a[44:47], v43, s[24:27], 0 offen offset:1024// 000000003C08: E05C1400 80862C2B
	buffer_load_dword v38, s[20:23], 0 offen lds               // 000000003C10: E0511000 80050026
	s_add_u32 m0, 0x100, s49                                   // 000000003C18: 807C31FF 00000100
	v_mfma_f32_16x16x32_fp8_fp8 v[56:59], a[60:61], a[28:29], v[56:59]// 000000003C20: D3F30038 1CE2393C
	v_mfma_f32_16x16x32_fp8_fp8 v[56:59], a[62:63], a[30:31], v[56:59]// 000000003C28: D3F30038 1CE23D3E
	buffer_load_dword v39, s[20:23], 0 offen lds               // 000000003C30: E0511000 80050027
	s_add_u32 m0, 0x200, s49                                   // 000000003C38: 807C31FF 00000200
	buffer_load_dword v40, s[20:23], 0 offen lds               // 000000003C40: E0511000 80050028
	s_add_u32 m0, 0x300, s49                                   // 000000003C48: 807C31FF 00000300
	buffer_load_dword v41, s[20:23], 0 offen lds               // 000000003C50: E0511000 80050029
	s_add_u32 m0, 0, s50                                       // 000000003C58: 807C3280
	s_waitcnt vmcnt(8)                                         // 000000003C5C: BF8C0F78
	s_barrier                                                  // 000000003C60: BF8A0000
	v_mfma_f32_16x16x32_fp8_fp8 v[60:63], a[64:65], a[16:17], v[60:63]// 000000003C64: D3F3003C 1CF22140
	v_mfma_f32_16x16x32_fp8_fp8 v[60:63], a[66:67], a[18:19], v[60:63]// 000000003C6C: D3F3003C 1CF22542
	buffer_load_dwordx4 a[48:51], v42, s[84:87], 0 offen       // 000000003C74: E05C1000 8095302A
	v_mfma_f32_16x16x32_fp8_fp8 v[60:63], a[68:69], a[20:21], v[60:63]// 000000003C7C: D3F3003C 1CF22944
	v_mfma_f32_16x16x32_fp8_fp8 v[60:63], a[70:71], a[22:23], v[60:63]// 000000003C84: D3F3003C 1CF22D46
	ds_read_b128 a[0:3], v2                                    // 000000003C8C: DBFE0000 00000002
	ds_read_b128 a[4:7], v2 offset:64                          // 000000003C94: DBFE0040 04000002
	v_mfma_f32_16x16x32_fp8_fp8 v[68:71], a[72:73], a[16:17], v[68:71]// 000000003C9C: D3F30044 1D122148
	v_mfma_f32_16x16x32_fp8_fp8 v[68:71], a[74:75], a[18:19], v[68:71]// 000000003CA4: D3F30044 1D12254A
	buffer_load_dwordx4 a[52:55], v42, s[84:87], 0 offen offset:1024// 000000003CAC: E05C1400 8095342A
	v_mfma_f32_16x16x32_fp8_fp8 v[68:71], a[76:77], a[20:21], v[68:71]// 000000003CB4: D3F30044 1D12294C
	v_mfma_f32_16x16x32_fp8_fp8 v[68:71], a[78:79], a[22:23], v[68:71]// 000000003CBC: D3F30044 1D122D4E
	ds_read_b128 a[8:11], v2 offset:512                        // 000000003CC4: DBFE0200 08000002
	ds_read_b128 a[12:15], v2 offset:576                       // 000000003CCC: DBFE0240 0C000002
	v_mfma_f32_16x16x32_fp8_fp8 v[64:67], a[64:65], a[24:25], v[64:67]// 000000003CD4: D3F30040 1D023140
	s_add_u32 s60, 0x180, s80                                  // 000000003CDC: 803C50FF 00000180
	s_cmp_lt_u32 s60, s81                                      // 000000003CE4: BF0A513C
	s_cselect_b32 s57, s57, 0                                  // 000000003CE8: 85398039
	v_mfma_f32_16x16x32_fp8_fp8 v[64:67], a[66:67], a[26:27], v[64:67]// 000000003CEC: D3F30040 1D023542
	buffer_load_dwordx4 a[56:59], v43, s[84:87], 0 offen       // 000000003CF4: E05C1000 8095382B
	s_add_u32 s60, 0x100, s80                                  // 000000003CFC: 803C50FF 00000100
	s_cmp_lt_u32 s60, s81                                      // 000000003D04: BF0A513C
	s_cselect_b32 s58, s58, 0                                  // 000000003D08: 853A803A
	v_mfma_f32_16x16x32_fp8_fp8 v[64:67], a[68:69], a[28:29], v[64:67]// 000000003D0C: D3F30040 1D023944
	s_add_u32 s60, 0x100, s80                                  // 000000003D14: 803C50FF 00000100
	s_cmp_lt_u32 s60, s81                                      // 000000003D1C: BF0A513C
	s_cselect_b32 s83, s83, 0                                  // 000000003D20: 85538053
	v_mfma_f32_16x16x32_fp8_fp8 v[64:67], a[70:71], a[30:31], v[64:67]// 000000003D24: D3F30040 1D023D46
	s_add_u32 s24, s58, s24                                    // 000000003D2C: 8018183A
	s_addc_u32 s25, 0, s25                                     // 000000003D30: 82191980
	v_mfma_f32_16x16x32_fp8_fp8 v[72:75], a[72:73], a[24:25], v[72:75]// 000000003D34: D3F30048 1D223148
	s_add_u32 s20, s57, s20                                    // 000000003D3C: 80141439
	s_addc_u32 s21, 0, s21                                     // 000000003D40: 82151580
	v_mfma_f32_16x16x32_fp8_fp8 v[72:75], a[74:75], a[26:27], v[72:75]// 000000003D44: D3F30048 1D22354A
	buffer_load_dwordx4 a[60:63], v43, s[84:87], 0 offen offset:1024// 000000003D4C: E05C1400 80953C2B
	s_add_u32 s84, s83, s84                                    // 000000003D54: 80545453
	s_addc_u32 s85, 0, s85                                     // 000000003D58: 82555580
	v_mfma_f32_16x16x32_fp8_fp8 v[72:75], a[76:77], a[28:29], v[72:75]// 000000003D5C: D3F30048 1D22394C
	v_mfma_f32_16x16x32_fp8_fp8 v[72:75], a[78:79], a[30:31], v[72:75]// 000000003D64: D3F30048 1D223D4E
	s_addk_i32 s80, 0x80                                       // 000000003D6C: B7500080
	s_cmp_lt_i32 s80, s81                                      // 000000003D70: BF045150
	s_cbranch_scc0 label_04DF                                  // 000000003D74: BF840001
	s_branch label_01E4                                        // 000000003D78: BF82FD05

0000000000003d7c <label_04DF>:
	v_mul_f32_dpp v44, v24, v44 row_newbcast:0 row_mask:0xf bank_mask:0xf// 000000003D7C: 0A5858FA FF015018
	v_mul_f32_dpp v45, v24, v45 row_newbcast:1 row_mask:0xf bank_mask:0xf// 000000003D84: 0A5A5AFA FF015118
	v_mul_f32_dpp v46, v24, v46 row_newbcast:2 row_mask:0xf bank_mask:0xf// 000000003D8C: 0A5C5CFA FF015218
	v_mul_f32_dpp v47, v24, v47 row_newbcast:3 row_mask:0xf bank_mask:0xf// 000000003D94: 0A5E5EFA FF015318
	v_mul_f32_dpp v48, v24, v48 row_newbcast:0 row_mask:0xf bank_mask:0xf// 000000003D9C: 0A6060FA FF015018
	v_mul_f32_dpp v49, v24, v49 row_newbcast:1 row_mask:0xf bank_mask:0xf// 000000003DA4: 0A6262FA FF015118
	v_mul_f32_dpp v50, v24, v50 row_newbcast:2 row_mask:0xf bank_mask:0xf// 000000003DAC: 0A6464FA FF015218
	v_mul_f32_dpp v51, v24, v51 row_newbcast:3 row_mask:0xf bank_mask:0xf// 000000003DB4: 0A6666FA FF015318
	v_mul_f32_dpp v52, v24, v52 row_newbcast:4 row_mask:0xf bank_mask:0xf// 000000003DBC: 0A6868FA FF015418
	v_mul_f32_dpp v53, v24, v53 row_newbcast:5 row_mask:0xf bank_mask:0xf// 000000003DC4: 0A6A6AFA FF015518
	v_mul_f32_dpp v54, v24, v54 row_newbcast:6 row_mask:0xf bank_mask:0xf// 000000003DCC: 0A6C6CFA FF015618
	v_mul_f32_dpp v55, v24, v55 row_newbcast:7 row_mask:0xf bank_mask:0xf// 000000003DD4: 0A6E6EFA FF015718
	v_mul_f32_dpp v56, v24, v56 row_newbcast:4 row_mask:0xf bank_mask:0xf// 000000003DDC: 0A7070FA FF015418
	v_mul_f32_dpp v57, v24, v57 row_newbcast:5 row_mask:0xf bank_mask:0xf// 000000003DE4: 0A7272FA FF015518
	v_mul_f32_dpp v58, v24, v58 row_newbcast:6 row_mask:0xf bank_mask:0xf// 000000003DEC: 0A7474FA FF015618
	v_mul_f32_dpp v59, v24, v59 row_newbcast:7 row_mask:0xf bank_mask:0xf// 000000003DF4: 0A7676FA FF015718
	v_mul_f32_dpp v60, v27, v60 row_newbcast:0 row_mask:0xf bank_mask:0xf// 000000003DFC: 0A7878FA FF01501B
	v_mul_f32_dpp v61, v27, v61 row_newbcast:1 row_mask:0xf bank_mask:0xf// 000000003E04: 0A7A7AFA FF01511B
	v_mul_f32_dpp v62, v27, v62 row_newbcast:2 row_mask:0xf bank_mask:0xf// 000000003E0C: 0A7C7CFA FF01521B
	v_mul_f32_dpp v63, v27, v63 row_newbcast:3 row_mask:0xf bank_mask:0xf// 000000003E14: 0A7E7EFA FF01531B
	v_mul_f32_dpp v64, v27, v64 row_newbcast:0 row_mask:0xf bank_mask:0xf// 000000003E1C: 0A8080FA FF01501B
	v_mul_f32_dpp v65, v27, v65 row_newbcast:1 row_mask:0xf bank_mask:0xf// 000000003E24: 0A8282FA FF01511B
	v_mul_f32_dpp v66, v27, v66 row_newbcast:2 row_mask:0xf bank_mask:0xf// 000000003E2C: 0A8484FA FF01521B
	v_mul_f32_dpp v67, v27, v67 row_newbcast:3 row_mask:0xf bank_mask:0xf// 000000003E34: 0A8686FA FF01531B
	v_mul_f32_dpp v68, v27, v68 row_newbcast:4 row_mask:0xf bank_mask:0xf// 000000003E3C: 0A8888FA FF01541B
	v_mul_f32_dpp v69, v27, v69 row_newbcast:5 row_mask:0xf bank_mask:0xf// 000000003E44: 0A8A8AFA FF01551B
	v_mul_f32_dpp v70, v27, v70 row_newbcast:6 row_mask:0xf bank_mask:0xf// 000000003E4C: 0A8C8CFA FF01561B
	v_mul_f32_dpp v71, v27, v71 row_newbcast:7 row_mask:0xf bank_mask:0xf// 000000003E54: 0A8E8EFA FF01571B
	v_mul_f32_dpp v72, v27, v72 row_newbcast:4 row_mask:0xf bank_mask:0xf// 000000003E5C: 0A9090FA FF01541B
	v_mul_f32_dpp v73, v27, v73 row_newbcast:5 row_mask:0xf bank_mask:0xf// 000000003E64: 0A9292FA FF01551B
	v_mul_f32_dpp v74, v27, v74 row_newbcast:6 row_mask:0xf bank_mask:0xf// 000000003E6C: 0A9494FA FF01561B
	v_mul_f32_dpp v75, v27, v75 row_newbcast:7 row_mask:0xf bank_mask:0xf// 000000003E74: 0A9696FA FF01571B
	v_mul_f32_e32 v32, v32, v76                                // 000000003E7C: 0A409920
	v_mov_b32_e32 v4, v32                                      // 000000003E80: 7E080320
	v_mov_b32_e32 v5, v4                                       // 000000003E84: 7E0A0304
	v_pk_mul_f32 v[44:45], v[4:5], v[44:45]                    // 000000003E88: D3B1402C 18025904
	v_pk_mul_f32 v[60:61], v[4:5], v[60:61]                    // 000000003E90: D3B1403C 18027904
	v_pk_mul_f32 v[46:47], v[4:5], v[46:47]                    // 000000003E98: D3B1402E 18025D04
	v_pk_mul_f32 v[62:63], v[4:5], v[62:63]                    // 000000003EA0: D3B1403E 18027D04
	v_pk_mul_f32 v[52:53], v[4:5], v[52:53]                    // 000000003EA8: D3B14034 18026904
	v_pk_mul_f32 v[68:69], v[4:5], v[68:69]                    // 000000003EB0: D3B14044 18028904
	v_pk_mul_f32 v[54:55], v[4:5], v[54:55]                    // 000000003EB8: D3B14036 18026D04
	v_pk_mul_f32 v[70:71], v[4:5], v[70:71]                    // 000000003EC0: D3B14046 18028D04
	v_mul_f32_e32 v33, v33, v77                                // 000000003EC8: 0A429B21
	v_mov_b32_e32 v4, v33                                      // 000000003ECC: 7E080321
	v_mov_b32_e32 v5, v4                                       // 000000003ED0: 7E0A0304
	v_pk_mul_f32 v[48:49], v[4:5], v[48:49]                    // 000000003ED4: D3B14030 18026104
	v_pk_mul_f32 v[64:65], v[4:5], v[64:65]                    // 000000003EDC: D3B14040 18028104
	v_pk_mul_f32 v[50:51], v[4:5], v[50:51]                    // 000000003EE4: D3B14032 18026504
	v_pk_mul_f32 v[66:67], v[4:5], v[66:67]                    // 000000003EEC: D3B14042 18028504
	v_pk_mul_f32 v[56:57], v[4:5], v[56:57]                    // 000000003EF4: D3B14038 18027104
	v_pk_mul_f32 v[72:73], v[4:5], v[72:73]                    // 000000003EFC: D3B14048 18029104
	v_pk_mul_f32 v[58:59], v[4:5], v[58:59]                    // 000000003F04: D3B1403A 18027504
	v_pk_mul_f32 v[74:75], v[4:5], v[74:75]                    // 000000003F0C: D3B1404A 18029504
	s_cmp_eq_u32 s88, 0                                        // 000000003F14: BF068058
	s_cbranch_scc0 label_07B8                                  // 000000003F18: BF840271
	s_cmp_eq_u32 s89, 0                                        // 000000003F1C: BF068059
	s_cbranch_scc1 label_05EE                                  // 000000003F20: BF8500A5
	v_mov_b32_e32 v8, v1                                       // 000000003F24: 7E100301
	v_mov_b32_e32 v9, v1                                       // 000000003F28: 7E120301
	s_mov_b32 s60, s6                                          // 000000003F2C: BEBC0006
	s_mov_b32 s61, s6                                          // 000000003F30: BEBD0006
	v_pk_mul_f32 v[4:5], v[44:45], v[44:45]                    // 000000003F34: D3B14004 1802592C
	v_pk_mul_f32 v[6:7], v[46:47], v[46:47]                    // 000000003F3C: D3B14006 18025D2E
	v_pk_fma_f32 v[4:5], v[4:5], s[78:79], v[8:9]              // 000000003F44: D3B04004 1C209D04
	v_pk_fma_f32 v[6:7], v[6:7], s[78:79], v[8:9]              // 000000003F4C: D3B04006 1C209D06
	v_pk_mul_f32 v[4:5], v[4:5], v[44:45]                      // 000000003F54: D3B14004 18025904
	v_pk_mul_f32 v[6:7], v[6:7], v[46:47]                      // 000000003F5C: D3B14006 18025D06
	v_pk_mul_f32 v[4:5], v[4:5], s[60:61]                      // 000000003F64: D3B14004 18007904
	v_pk_mul_f32 v[6:7], v[6:7], s[60:61]                      // 000000003F6C: D3B14006 18007906
	v_exp_f32_e32 v4, v4                                       // 000000003F74: 7E084104
	v_exp_f32_e32 v5, v5                                       // 000000003F78: 7E0A4105
	v_exp_f32_e32 v6, v6                                       // 000000003F7C: 7E0C4106
	v_exp_f32_e32 v7, v7                                       // 000000003F80: 7E0E4107
	v_add_f32_e64 v4, v4, 1.0                                  // 000000003F84: D1010004 0001E504
	v_add_f32_e64 v5, v5, 1.0                                  // 000000003F8C: D1010005 0001E505
	v_add_f32_e64 v6, v6, 1.0                                  // 000000003F94: D1010006 0001E506
	v_add_f32_e64 v7, v7, 1.0                                  // 000000003F9C: D1010007 0001E507
	v_rcp_f32_e32 v4, v4                                       // 000000003FA4: 7E084504
	v_rcp_f32_e32 v5, v5                                       // 000000003FA8: 7E0A4505
	v_rcp_f32_e32 v6, v6                                       // 000000003FAC: 7E0C4506
	v_rcp_f32_e32 v7, v7                                       // 000000003FB0: 7E0E4507
	v_mul_f32_e32 v44, v44, v4                                 // 000000003FB4: 0A58092C
	v_mul_f32_e32 v45, v45, v5                                 // 000000003FB8: 0A5A0B2D
	v_mul_f32_e32 v46, v46, v6                                 // 000000003FBC: 0A5C0D2E
	v_mul_f32_e32 v47, v47, v7                                 // 000000003FC0: 0A5E0F2F
	v_mul_f32_e32 v44, v44, v60                                // 000000003FC4: 0A58792C
	v_mul_f32_e32 v45, v45, v61                                // 000000003FC8: 0A5A7B2D
	v_mul_f32_e32 v46, v46, v62                                // 000000003FCC: 0A5C7D2E
	v_mul_f32_e32 v47, v47, v63                                // 000000003FD0: 0A5E7F2F
	v_pk_mul_f32 v[4:5], v[48:49], v[48:49]                    // 000000003FD4: D3B14004 18026130
	v_pk_mul_f32 v[6:7], v[50:51], v[50:51]                    // 000000003FDC: D3B14006 18026532
	v_pk_fma_f32 v[4:5], v[4:5], s[78:79], v[8:9]              // 000000003FE4: D3B04004 1C209D04
	v_pk_fma_f32 v[6:7], v[6:7], s[78:79], v[8:9]              // 000000003FEC: D3B04006 1C209D06
	v_pk_mul_f32 v[4:5], v[4:5], v[48:49]                      // 000000003FF4: D3B14004 18026104
	v_pk_mul_f32 v[6:7], v[6:7], v[50:51]                      // 000000003FFC: D3B14006 18026506
	v_pk_mul_f32 v[4:5], v[4:5], s[60:61]                      // 000000004004: D3B14004 18007904
	v_pk_mul_f32 v[6:7], v[6:7], s[60:61]                      // 00000000400C: D3B14006 18007906
	v_exp_f32_e32 v4, v4                                       // 000000004014: 7E084104
	v_exp_f32_e32 v5, v5                                       // 000000004018: 7E0A4105
	v_exp_f32_e32 v6, v6                                       // 00000000401C: 7E0C4106
	v_exp_f32_e32 v7, v7                                       // 000000004020: 7E0E4107
	v_add_f32_e64 v4, v4, 1.0                                  // 000000004024: D1010004 0001E504
	v_add_f32_e64 v5, v5, 1.0                                  // 00000000402C: D1010005 0001E505
	v_add_f32_e64 v6, v6, 1.0                                  // 000000004034: D1010006 0001E506
	v_add_f32_e64 v7, v7, 1.0                                  // 00000000403C: D1010007 0001E507
	v_rcp_f32_e32 v4, v4                                       // 000000004044: 7E084504
	v_rcp_f32_e32 v5, v5                                       // 000000004048: 7E0A4505
	v_rcp_f32_e32 v6, v6                                       // 00000000404C: 7E0C4506
	v_rcp_f32_e32 v7, v7                                       // 000000004050: 7E0E4507
	v_mul_f32_e32 v48, v48, v4                                 // 000000004054: 0A600930
	v_mul_f32_e32 v49, v49, v5                                 // 000000004058: 0A620B31
	v_mul_f32_e32 v50, v50, v6                                 // 00000000405C: 0A640D32
	v_mul_f32_e32 v51, v51, v7                                 // 000000004060: 0A660F33
	v_mul_f32_e32 v48, v48, v64                                // 000000004064: 0A608130
	v_mul_f32_e32 v49, v49, v65                                // 000000004068: 0A628331
	v_mul_f32_e32 v50, v50, v66                                // 00000000406C: 0A648532
	v_mul_f32_e32 v51, v51, v67                                // 000000004070: 0A668733
	v_pk_mul_f32 v[4:5], v[52:53], v[52:53]                    // 000000004074: D3B14004 18026934
	v_pk_mul_f32 v[6:7], v[54:55], v[54:55]                    // 00000000407C: D3B14006 18026D36
	v_pk_fma_f32 v[4:5], v[4:5], s[78:79], v[8:9]              // 000000004084: D3B04004 1C209D04
	v_pk_fma_f32 v[6:7], v[6:7], s[78:79], v[8:9]              // 00000000408C: D3B04006 1C209D06
	v_pk_mul_f32 v[4:5], v[4:5], v[52:53]                      // 000000004094: D3B14004 18026904
	v_pk_mul_f32 v[6:7], v[6:7], v[54:55]                      // 00000000409C: D3B14006 18026D06
	v_pk_mul_f32 v[4:5], v[4:5], s[60:61]                      // 0000000040A4: D3B14004 18007904
	v_pk_mul_f32 v[6:7], v[6:7], s[60:61]                      // 0000000040AC: D3B14006 18007906
	v_exp_f32_e32 v4, v4                                       // 0000000040B4: 7E084104
	v_exp_f32_e32 v5, v5                                       // 0000000040B8: 7E0A4105
	v_exp_f32_e32 v6, v6                                       // 0000000040BC: 7E0C4106
	v_exp_f32_e32 v7, v7                                       // 0000000040C0: 7E0E4107
	v_add_f32_e64 v4, v4, 1.0                                  // 0000000040C4: D1010004 0001E504
	v_add_f32_e64 v5, v5, 1.0                                  // 0000000040CC: D1010005 0001E505
	v_add_f32_e64 v6, v6, 1.0                                  // 0000000040D4: D1010006 0001E506
	v_add_f32_e64 v7, v7, 1.0                                  // 0000000040DC: D1010007 0001E507
	v_rcp_f32_e32 v4, v4                                       // 0000000040E4: 7E084504
	v_rcp_f32_e32 v5, v5                                       // 0000000040E8: 7E0A4505
	v_rcp_f32_e32 v6, v6                                       // 0000000040EC: 7E0C4506
	v_rcp_f32_e32 v7, v7                                       // 0000000040F0: 7E0E4507
	v_mul_f32_e32 v52, v52, v4                                 // 0000000040F4: 0A680934
	v_mul_f32_e32 v53, v53, v5                                 // 0000000040F8: 0A6A0B35
	v_mul_f32_e32 v54, v54, v6                                 // 0000000040FC: 0A6C0D36
	v_mul_f32_e32 v55, v55, v7                                 // 000000004100: 0A6E0F37
	v_mul_f32_e32 v52, v52, v68                                // 000000004104: 0A688934
	v_mul_f32_e32 v53, v53, v69                                // 000000004108: 0A6A8B35
	v_mul_f32_e32 v54, v54, v70                                // 00000000410C: 0A6C8D36
	v_mul_f32_e32 v55, v55, v71                                // 000000004110: 0A6E8F37
	v_pk_mul_f32 v[4:5], v[56:57], v[56:57]                    // 000000004114: D3B14004 18027138
	v_pk_mul_f32 v[6:7], v[58:59], v[58:59]                    // 00000000411C: D3B14006 1802753A
	v_pk_fma_f32 v[4:5], v[4:5], s[78:79], v[8:9]              // 000000004124: D3B04004 1C209D04
	v_pk_fma_f32 v[6:7], v[6:7], s[78:79], v[8:9]              // 00000000412C: D3B04006 1C209D06
	v_pk_mul_f32 v[4:5], v[4:5], v[56:57]                      // 000000004134: D3B14004 18027104
	v_pk_mul_f32 v[6:7], v[6:7], v[58:59]                      // 00000000413C: D3B14006 18027506
	v_pk_mul_f32 v[4:5], v[4:5], s[60:61]                      // 000000004144: D3B14004 18007904
	v_pk_mul_f32 v[6:7], v[6:7], s[60:61]                      // 00000000414C: D3B14006 18007906
	v_exp_f32_e32 v4, v4                                       // 000000004154: 7E084104
	v_exp_f32_e32 v5, v5                                       // 000000004158: 7E0A4105
	v_exp_f32_e32 v6, v6                                       // 00000000415C: 7E0C4106
	v_exp_f32_e32 v7, v7                                       // 000000004160: 7E0E4107
	v_add_f32_e64 v4, v4, 1.0                                  // 000000004164: D1010004 0001E504
	v_add_f32_e64 v5, v5, 1.0                                  // 00000000416C: D1010005 0001E505
	v_add_f32_e64 v6, v6, 1.0                                  // 000000004174: D1010006 0001E506
	v_add_f32_e64 v7, v7, 1.0                                  // 00000000417C: D1010007 0001E507
	v_rcp_f32_e32 v4, v4                                       // 000000004184: 7E084504
	v_rcp_f32_e32 v5, v5                                       // 000000004188: 7E0A4505
	v_rcp_f32_e32 v6, v6                                       // 00000000418C: 7E0C4506
	v_rcp_f32_e32 v7, v7                                       // 000000004190: 7E0E4507
	v_mul_f32_e32 v56, v56, v4                                 // 000000004194: 0A700938
	v_mul_f32_e32 v57, v57, v5                                 // 000000004198: 0A720B39
	v_mul_f32_e32 v58, v58, v6                                 // 00000000419C: 0A740D3A
	v_mul_f32_e32 v59, v59, v7                                 // 0000000041A0: 0A760F3B
	v_mul_f32_e32 v56, v56, v72                                // 0000000041A4: 0A709138
	v_mul_f32_e32 v57, v57, v73                                // 0000000041A8: 0A729339
	v_mul_f32_e32 v58, v58, v74                                // 0000000041AC: 0A74953A
	v_mul_f32_e32 v59, v59, v75                                // 0000000041B0: 0A76973B
	s_branch label_066E                                        // 0000000041B4: BF820080

00000000000041b8 <label_05EE>:
	v_mul_f32_e64 v4, -v44, s6                                 // 0000000041B8: D1050004 20000D2C
	v_mul_f32_e64 v5, -v45, s6                                 // 0000000041C0: D1050005 20000D2D
	v_mul_f32_e64 v6, -v46, s6                                 // 0000000041C8: D1050006 20000D2E
	v_mul_f32_e64 v7, -v47, s6                                 // 0000000041D0: D1050007 20000D2F
	v_exp_f32_e32 v4, v4                                       // 0000000041D8: 7E084104
	v_exp_f32_e32 v5, v5                                       // 0000000041DC: 7E0A4105
	v_exp_f32_e32 v6, v6                                       // 0000000041E0: 7E0C4106
	v_exp_f32_e32 v7, v7                                       // 0000000041E4: 7E0E4107
	v_add_f32_e64 v4, v4, 1.0                                  // 0000000041E8: D1010004 0001E504
	v_add_f32_e64 v5, v5, 1.0                                  // 0000000041F0: D1010005 0001E505
	v_add_f32_e64 v6, v6, 1.0                                  // 0000000041F8: D1010006 0001E506
	v_add_f32_e64 v7, v7, 1.0                                  // 000000004200: D1010007 0001E507
	v_rcp_f32_e32 v4, v4                                       // 000000004208: 7E084504
	v_rcp_f32_e32 v5, v5                                       // 00000000420C: 7E0A4505
	v_rcp_f32_e32 v6, v6                                       // 000000004210: 7E0C4506
	v_rcp_f32_e32 v7, v7                                       // 000000004214: 7E0E4507
	v_mul_f32_e32 v44, v44, v4                                 // 000000004218: 0A58092C
	v_mul_f32_e32 v45, v45, v5                                 // 00000000421C: 0A5A0B2D
	v_mul_f32_e32 v46, v46, v6                                 // 000000004220: 0A5C0D2E
	v_mul_f32_e32 v47, v47, v7                                 // 000000004224: 0A5E0F2F
	v_mul_f32_e32 v44, v44, v60                                // 000000004228: 0A58792C
	v_mul_f32_e32 v45, v45, v61                                // 00000000422C: 0A5A7B2D
	v_mul_f32_e32 v46, v46, v62                                // 000000004230: 0A5C7D2E
	v_mul_f32_e32 v47, v47, v63                                // 000000004234: 0A5E7F2F
	v_mul_f32_e64 v4, -v48, s6                                 // 000000004238: D1050004 20000D30
	v_mul_f32_e64 v5, -v49, s6                                 // 000000004240: D1050005 20000D31
	v_mul_f32_e64 v6, -v50, s6                                 // 000000004248: D1050006 20000D32
	v_mul_f32_e64 v7, -v51, s6                                 // 000000004250: D1050007 20000D33
	v_exp_f32_e32 v4, v4                                       // 000000004258: 7E084104
	v_exp_f32_e32 v5, v5                                       // 00000000425C: 7E0A4105
	v_exp_f32_e32 v6, v6                                       // 000000004260: 7E0C4106
	v_exp_f32_e32 v7, v7                                       // 000000004264: 7E0E4107
	v_add_f32_e64 v4, v4, 1.0                                  // 000000004268: D1010004 0001E504
	v_add_f32_e64 v5, v5, 1.0                                  // 000000004270: D1010005 0001E505
	v_add_f32_e64 v6, v6, 1.0                                  // 000000004278: D1010006 0001E506
	v_add_f32_e64 v7, v7, 1.0                                  // 000000004280: D1010007 0001E507
	v_rcp_f32_e32 v4, v4                                       // 000000004288: 7E084504
	v_rcp_f32_e32 v5, v5                                       // 00000000428C: 7E0A4505
	v_rcp_f32_e32 v6, v6                                       // 000000004290: 7E0C4506
	v_rcp_f32_e32 v7, v7                                       // 000000004294: 7E0E4507
	v_mul_f32_e32 v48, v48, v4                                 // 000000004298: 0A600930
	v_mul_f32_e32 v49, v49, v5                                 // 00000000429C: 0A620B31
	v_mul_f32_e32 v50, v50, v6                                 // 0000000042A0: 0A640D32
	v_mul_f32_e32 v51, v51, v7                                 // 0000000042A4: 0A660F33
	v_mul_f32_e32 v48, v48, v64                                // 0000000042A8: 0A608130
	v_mul_f32_e32 v49, v49, v65                                // 0000000042AC: 0A628331
	v_mul_f32_e32 v50, v50, v66                                // 0000000042B0: 0A648532
	v_mul_f32_e32 v51, v51, v67                                // 0000000042B4: 0A668733
	v_mul_f32_e64 v4, -v52, s6                                 // 0000000042B8: D1050004 20000D34
	v_mul_f32_e64 v5, -v53, s6                                 // 0000000042C0: D1050005 20000D35
	v_mul_f32_e64 v6, -v54, s6                                 // 0000000042C8: D1050006 20000D36
	v_mul_f32_e64 v7, -v55, s6                                 // 0000000042D0: D1050007 20000D37
	v_exp_f32_e32 v4, v4                                       // 0000000042D8: 7E084104
	v_exp_f32_e32 v5, v5                                       // 0000000042DC: 7E0A4105
	v_exp_f32_e32 v6, v6                                       // 0000000042E0: 7E0C4106
	v_exp_f32_e32 v7, v7                                       // 0000000042E4: 7E0E4107
	v_add_f32_e64 v4, v4, 1.0                                  // 0000000042E8: D1010004 0001E504
	v_add_f32_e64 v5, v5, 1.0                                  // 0000000042F0: D1010005 0001E505
	v_add_f32_e64 v6, v6, 1.0                                  // 0000000042F8: D1010006 0001E506
	v_add_f32_e64 v7, v7, 1.0                                  // 000000004300: D1010007 0001E507
	v_rcp_f32_e32 v4, v4                                       // 000000004308: 7E084504
	v_rcp_f32_e32 v5, v5                                       // 00000000430C: 7E0A4505
	v_rcp_f32_e32 v6, v6                                       // 000000004310: 7E0C4506
	v_rcp_f32_e32 v7, v7                                       // 000000004314: 7E0E4507
	v_mul_f32_e32 v52, v52, v4                                 // 000000004318: 0A680934
	v_mul_f32_e32 v53, v53, v5                                 // 00000000431C: 0A6A0B35
	v_mul_f32_e32 v54, v54, v6                                 // 000000004320: 0A6C0D36
	v_mul_f32_e32 v55, v55, v7                                 // 000000004324: 0A6E0F37
	v_mul_f32_e32 v52, v52, v68                                // 000000004328: 0A688934
	v_mul_f32_e32 v53, v53, v69                                // 00000000432C: 0A6A8B35
	v_mul_f32_e32 v54, v54, v70                                // 000000004330: 0A6C8D36
	v_mul_f32_e32 v55, v55, v71                                // 000000004334: 0A6E8F37
	v_mul_f32_e64 v4, -v56, s6                                 // 000000004338: D1050004 20000D38
	v_mul_f32_e64 v5, -v57, s6                                 // 000000004340: D1050005 20000D39
	v_mul_f32_e64 v6, -v58, s6                                 // 000000004348: D1050006 20000D3A
	v_mul_f32_e64 v7, -v59, s6                                 // 000000004350: D1050007 20000D3B
	v_exp_f32_e32 v4, v4                                       // 000000004358: 7E084104
	v_exp_f32_e32 v5, v5                                       // 00000000435C: 7E0A4105
	v_exp_f32_e32 v6, v6                                       // 000000004360: 7E0C4106
	v_exp_f32_e32 v7, v7                                       // 000000004364: 7E0E4107
	v_add_f32_e64 v4, v4, 1.0                                  // 000000004368: D1010004 0001E504
	v_add_f32_e64 v5, v5, 1.0                                  // 000000004370: D1010005 0001E505
	v_add_f32_e64 v6, v6, 1.0                                  // 000000004378: D1010006 0001E506
	v_add_f32_e64 v7, v7, 1.0                                  // 000000004380: D1010007 0001E507
	v_rcp_f32_e32 v4, v4                                       // 000000004388: 7E084504
	v_rcp_f32_e32 v5, v5                                       // 00000000438C: 7E0A4505
	v_rcp_f32_e32 v6, v6                                       // 000000004390: 7E0C4506
	v_rcp_f32_e32 v7, v7                                       // 000000004394: 7E0E4507
	v_mul_f32_e32 v56, v56, v4                                 // 000000004398: 0A700938
	v_mul_f32_e32 v57, v57, v5                                 // 00000000439C: 0A720B39
	v_mul_f32_e32 v58, v58, v6                                 // 0000000043A0: 0A740D3A
	v_mul_f32_e32 v59, v59, v7                                 // 0000000043A4: 0A760F3B
	v_mul_f32_e32 v56, v56, v72                                // 0000000043A8: 0A709138
	v_mul_f32_e32 v57, v57, v73                                // 0000000043AC: 0A729339
	v_mul_f32_e32 v58, v58, v74                                // 0000000043B0: 0A74953A
	v_mul_f32_e32 v59, v59, v75                                // 0000000043B4: 0A76973B

00000000000043b8 <label_066E>:
	v_cmp_u_f32_e64 s[46:47], v44, v44                         // 0000000043B8: D048002E 0002592C
	v_add3_u32 v16, v44, v19, 1                                // 0000000043C0: D1FF0010 0206272C
	v_cndmask_b32_e64 v4, v16, v18, s[46:47]                   // 0000000043C8: D1000004 00BA2510
	v_cmp_u_f32_e64 s[46:47], v45, v45                         // 0000000043D0: D048002E 00025B2D
	v_add3_u32 v16, v45, v19, 1                                // 0000000043D8: D1FF0010 0206272D
	v_cndmask_b32_e64 v5, v16, v18, s[46:47]                   // 0000000043E0: D1000005 00BA2510
	v_perm_b32 v44, v5, v4, s52                                // 0000000043E8: D1ED002C 00D20905
	v_cmp_u_f32_e64 s[46:47], v46, v46                         // 0000000043F0: D048002E 00025D2E
	v_add3_u32 v16, v46, v19, 1                                // 0000000043F8: D1FF0010 0206272E
	v_cndmask_b32_e64 v4, v16, v18, s[46:47]                   // 000000004400: D1000004 00BA2510
	v_cmp_u_f32_e64 s[46:47], v47, v47                         // 000000004408: D048002E 00025F2F
	v_add3_u32 v16, v47, v19, 1                                // 000000004410: D1FF0010 0206272F
	v_cndmask_b32_e64 v5, v16, v18, s[46:47]                   // 000000004418: D1000005 00BA2510
	v_perm_b32 v45, v5, v4, s52                                // 000000004420: D1ED002D 00D20905
	v_cmp_u_f32_e64 s[46:47], v48, v48                         // 000000004428: D048002E 00026130
	v_add3_u32 v16, v48, v19, 1                                // 000000004430: D1FF0010 02062730
	v_cndmask_b32_e64 v4, v16, v18, s[46:47]                   // 000000004438: D1000004 00BA2510
	v_cmp_u_f32_e64 s[46:47], v49, v49                         // 000000004440: D048002E 00026331
	v_add3_u32 v16, v49, v19, 1                                // 000000004448: D1FF0010 02062731
	v_cndmask_b32_e64 v5, v16, v18, s[46:47]                   // 000000004450: D1000005 00BA2510
	v_perm_b32 v46, v5, v4, s52                                // 000000004458: D1ED002E 00D20905
	v_cmp_u_f32_e64 s[46:47], v50, v50                         // 000000004460: D048002E 00026532
	v_add3_u32 v16, v50, v19, 1                                // 000000004468: D1FF0010 02062732
	v_cndmask_b32_e64 v4, v16, v18, s[46:47]                   // 000000004470: D1000004 00BA2510
	v_cmp_u_f32_e64 s[46:47], v51, v51                         // 000000004478: D048002E 00026733
	v_add3_u32 v16, v51, v19, 1                                // 000000004480: D1FF0010 02062733
	v_cndmask_b32_e64 v5, v16, v18, s[46:47]                   // 000000004488: D1000005 00BA2510
	v_perm_b32 v47, v5, v4, s52                                // 000000004490: D1ED002F 00D20905
	v_cmp_u_f32_e64 s[46:47], v52, v52                         // 000000004498: D048002E 00026934
	v_add3_u32 v16, v52, v19, 1                                // 0000000044A0: D1FF0010 02062734
	v_cndmask_b32_e64 v4, v16, v18, s[46:47]                   // 0000000044A8: D1000004 00BA2510
	v_cmp_u_f32_e64 s[46:47], v53, v53                         // 0000000044B0: D048002E 00026B35
	v_add3_u32 v16, v53, v19, 1                                // 0000000044B8: D1FF0010 02062735
	v_cndmask_b32_e64 v5, v16, v18, s[46:47]                   // 0000000044C0: D1000005 00BA2510
	v_perm_b32 v48, v5, v4, s52                                // 0000000044C8: D1ED0030 00D20905
	v_cmp_u_f32_e64 s[46:47], v54, v54                         // 0000000044D0: D048002E 00026D36
	v_add3_u32 v16, v54, v19, 1                                // 0000000044D8: D1FF0010 02062736
	v_cndmask_b32_e64 v4, v16, v18, s[46:47]                   // 0000000044E0: D1000004 00BA2510
	v_cmp_u_f32_e64 s[46:47], v55, v55                         // 0000000044E8: D048002E 00026F37
	v_add3_u32 v16, v55, v19, 1                                // 0000000044F0: D1FF0010 02062737
	v_cndmask_b32_e64 v5, v16, v18, s[46:47]                   // 0000000044F8: D1000005 00BA2510
	v_perm_b32 v49, v5, v4, s52                                // 000000004500: D1ED0031 00D20905
	v_cmp_u_f32_e64 s[46:47], v56, v56                         // 000000004508: D048002E 00027138
	v_add3_u32 v16, v56, v19, 1                                // 000000004510: D1FF0010 02062738
	v_cndmask_b32_e64 v4, v16, v18, s[46:47]                   // 000000004518: D1000004 00BA2510
	v_cmp_u_f32_e64 s[46:47], v57, v57                         // 000000004520: D048002E 00027339
	v_add3_u32 v16, v57, v19, 1                                // 000000004528: D1FF0010 02062739
	v_cndmask_b32_e64 v5, v16, v18, s[46:47]                   // 000000004530: D1000005 00BA2510
	v_perm_b32 v50, v5, v4, s52                                // 000000004538: D1ED0032 00D20905
	v_cmp_u_f32_e64 s[46:47], v58, v58                         // 000000004540: D048002E 0002753A
	v_add3_u32 v16, v58, v19, 1                                // 000000004548: D1FF0010 0206273A
	v_cndmask_b32_e64 v4, v16, v18, s[46:47]                   // 000000004550: D1000004 00BA2510
	v_cmp_u_f32_e64 s[46:47], v59, v59                         // 000000004558: D048002E 0002773B
	v_add3_u32 v16, v59, v19, 1                                // 000000004560: D1FF0010 0206273B
	v_cndmask_b32_e64 v5, v16, v18, s[46:47]                   // 000000004568: D1000005 00BA2510
	v_perm_b32 v51, v5, v4, s52                                // 000000004570: D1ED0033 00D20905
	ds_write_b64 v20, v[44:45]                                 // 000000004578: D89A0000 00002C14
	ds_write_b64 v20, v[46:47] offset:4352                     // 000000004580: D89A1100 00002E14
	ds_write_b64 v20, v[48:49] offset:2176                     // 000000004588: D89A0880 00003014
	ds_write_b64 v20, v[50:51] offset:6528                     // 000000004590: D89A1980 00003214
	v_lshrrev_b32_e32 v4, 5, v0                                // 000000004598: 20080085
	v_xor_b32_e32 v5, 1, v4                                    // 00000000459C: 2A0A0881
	s_mul_i32 s60, s65, 2                                      // 0000000045A0: 923C8241
	s_cmp_eq_u32 s88, 0                                        // 0000000045A4: BF068058
	s_cselect_b32 s61, 1, 4                                    // 0000000045A8: 853D8481
	s_mul_i32 s60, s61, s60                                    // 0000000045AC: 923C3C3D
	v_readlane_b32 s82, v3, 0                                  // 0000000045B0: D2890052 00010103
	s_lshr_b32 s61, s82, 24                                    // 0000000045B8: 8F3D9852
	s_and_b32 s82, s82, 0xffffff                               // 0000000045BC: 8652FF52 00FFFFFF
	s_mul_i32 s82, s82, s71                                    // 0000000045C4: 92524752
	s_mul_i32 s61, s60, s61                                    // 0000000045C8: 923D3D3C
	s_add_u32 s82, s82, s61                                    // 0000000045CC: 80523D52
	v_mul_lo_u32 v6, v5, s82                                   // 0000000045D0: D2850006 0000A505
	v_readlane_b32 s82, v3, 1                                  // 0000000045D8: D2890052 00010303
	s_lshr_b32 s61, s82, 24                                    // 0000000045E0: 8F3D9852
	s_and_b32 s82, s82, 0xffffff                               // 0000000045E4: 8652FF52 00FFFFFF
	s_mul_i32 s82, s82, s71                                    // 0000000045EC: 92524752
	s_mul_i32 s61, s60, s61                                    // 0000000045F0: 923D3D3C
	s_add_u32 s82, s82, s61                                    // 0000000045F4: 80523D52
	v_mul_lo_u32 v7, v4, s82                                   // 0000000045F8: D2850007 0000A504
	v_add_u32_e32 v38, v6, v7                                  // 000000004600: 684C0F06
	v_readlane_b32 s82, v3, 2                                  // 000000004604: D2890052 00010503
	s_lshr_b32 s61, s82, 24                                    // 00000000460C: 8F3D9852
	s_and_b32 s82, s82, 0xffffff                               // 000000004610: 8652FF52 00FFFFFF
	s_mul_i32 s82, s82, s71                                    // 000000004618: 92524752
	s_mul_i32 s61, s60, s61                                    // 00000000461C: 923D3D3C
	s_add_u32 s82, s82, s61                                    // 000000004620: 80523D52
	v_mul_lo_u32 v6, v5, s82                                   // 000000004624: D2850006 0000A505
	v_readlane_b32 s82, v3, 3                                  // 00000000462C: D2890052 00010703
	s_lshr_b32 s61, s82, 24                                    // 000000004634: 8F3D9852
	s_and_b32 s82, s82, 0xffffff                               // 000000004638: 8652FF52 00FFFFFF
	s_mul_i32 s82, s82, s71                                    // 000000004640: 92524752
	s_mul_i32 s61, s60, s61                                    // 000000004644: 923D3D3C
	s_add_u32 s82, s82, s61                                    // 000000004648: 80523D52
	v_mul_lo_u32 v7, v4, s82                                   // 00000000464C: D2850007 0000A504
	v_add_u32_e32 v39, v6, v7                                  // 000000004654: 684E0F06
	v_readlane_b32 s82, v3, 4                                  // 000000004658: D2890052 00010903
	s_lshr_b32 s61, s82, 24                                    // 000000004660: 8F3D9852
	s_and_b32 s82, s82, 0xffffff                               // 000000004664: 8652FF52 00FFFFFF
	s_mul_i32 s82, s82, s71                                    // 00000000466C: 92524752
	s_mul_i32 s61, s60, s61                                    // 000000004670: 923D3D3C
	s_add_u32 s82, s82, s61                                    // 000000004674: 80523D52
	v_mul_lo_u32 v6, v5, s82                                   // 000000004678: D2850006 0000A505
	v_readlane_b32 s82, v3, 5                                  // 000000004680: D2890052 00010B03
	s_lshr_b32 s61, s82, 24                                    // 000000004688: 8F3D9852
	s_and_b32 s82, s82, 0xffffff                               // 00000000468C: 8652FF52 00FFFFFF
	s_mul_i32 s82, s82, s71                                    // 000000004694: 92524752
	s_mul_i32 s61, s60, s61                                    // 000000004698: 923D3D3C
	s_add_u32 s82, s82, s61                                    // 00000000469C: 80523D52
	v_mul_lo_u32 v7, v4, s82                                   // 0000000046A0: D2850007 0000A504
	v_add_u32_e32 v40, v6, v7                                  // 0000000046A8: 68500F06
	v_readlane_b32 s82, v3, 6                                  // 0000000046AC: D2890052 00010D03
	s_lshr_b32 s61, s82, 24                                    // 0000000046B4: 8F3D9852
	s_and_b32 s82, s82, 0xffffff                               // 0000000046B8: 8652FF52 00FFFFFF
	s_mul_i32 s82, s82, s71                                    // 0000000046C0: 92524752
	s_mul_i32 s61, s60, s61                                    // 0000000046C4: 923D3D3C
	s_add_u32 s82, s82, s61                                    // 0000000046C8: 80523D52
	v_mul_lo_u32 v6, v5, s82                                   // 0000000046CC: D2850006 0000A505
	v_readlane_b32 s82, v3, 7                                  // 0000000046D4: D2890052 00010F03
	s_lshr_b32 s61, s82, 24                                    // 0000000046DC: 8F3D9852
	s_and_b32 s82, s82, 0xffffff                               // 0000000046E0: 8652FF52 00FFFFFF
	s_mul_i32 s82, s82, s71                                    // 0000000046E8: 92524752
	s_mul_i32 s61, s60, s61                                    // 0000000046EC: 923D3D3C
	s_add_u32 s82, s82, s61                                    // 0000000046F0: 80523D52
	v_mul_lo_u32 v7, v4, s82                                   // 0000000046F4: D2850007 0000A504
	v_add_u32_e32 v41, v6, v7                                  // 0000000046FC: 68520F06
	v_and_b32_e32 v4, 31, v0                                   // 000000004700: 2608009F
	v_lshrrev_b32_e32 v4, 1, v4                                // 000000004704: 20080881
	s_cmp_eq_u32 s88, 0                                        // 000000004708: BF068058
	s_cselect_b32 s61, 2, 4                                    // 00000000470C: 853D8482
	v_mul_lo_u32 v4, v4, s61                                   // 000000004710: D2850004 00007B04
	v_and_b32_e64 v5, v0, 1                                    // 000000004718: D1130005 00010300
	v_add_u32_e32 v4, v4, v5                                   // 000000004720: 68080B04
	v_lshlrev_b32_e32 v4, 2, v4                                // 000000004724: 24080882
	v_add_u32_e32 v38, v38, v4                                 // 000000004728: 684C0926
	v_add_u32_e32 v39, v39, v4                                 // 00000000472C: 684E0927
	v_add_u32_e32 v40, v40, v4                                 // 000000004730: 68500928
	v_add_u32_e32 v41, v41, v4                                 // 000000004734: 68520929
	s_waitcnt lgkmcnt(0)                                       // 000000004738: BF8CC07F
	s_barrier                                                  // 00000000473C: BF8A0000
	ds_read_b32 v44, v21                                       // 000000004740: D86C0000 2C000015
	ds_read_b32 v45, v21 offset:64                             // 000000004748: D86C0040 2D000015
	ds_read_b32 v46, v21 offset:2176                           // 000000004750: D86C0880 2E000015
	ds_read_b32 v47, v21 offset:2240                           // 000000004758: D86C08C0 2F000015
	ds_read_b32 v48, v21 offset:4352                           // 000000004760: D86C1100 30000015
	ds_read_b32 v49, v21 offset:4416                           // 000000004768: D86C1140 31000015
	ds_read_b32 v50, v21 offset:6528                           // 000000004770: D86C1980 32000015
	ds_read_b32 v51, v21 offset:6592                           // 000000004778: D86C19C0 33000015
	s_waitcnt lgkmcnt(0)                                       // 000000004780: BF8CC07F
	s_mov_b32 s36, -1                                          // 000000004784: BEA400C1
	s_mov_b32 s37, -1                                          // 000000004788: BEA500C1
	v_mov_b32_e32 v7, 0                                        // 00000000478C: 7E0E0280
	s_or_b32 s9, s9, 0x40000                                   // 000000004790: 8709FF09 00040000
	s_mov_b64 exec, s[36:37]                                   // 000000004798: BEFE0124
	v_mov_b32_e32 v6, v38                                      // 00000000479C: 7E0C0326
	s_mov_b64 s[60:61], 0                                      // 0000000047A0: BEBC0180
	v_readlane_b32 s82, v3, 0                                  // 0000000047A4: D2890052 00010103
	s_and_b32 s82, s82, 0xffffff                               // 0000000047AC: 8652FF52 00FFFFFF
	s_cmp_lt_u32 s82, s66                                      // 0000000047B4: BF0A4252
	s_cselect_b32 s20, s36, s60                                // 0000000047B8: 85143C24
	v_readlane_b32 s82, v3, 1                                  // 0000000047BC: D2890052 00010303
	s_and_b32 s82, s82, 0xffffff                               // 0000000047C4: 8652FF52 00FFFFFF
	s_cmp_lt_u32 s82, s66                                      // 0000000047CC: BF0A4252
	s_cselect_b32 s21, s36, s60                                // 0000000047D0: 85153C24
	s_mov_b64 exec, s[20:21]                                   // 0000000047D4: BEFE0114
	buffer_store_dword v44, v6, s[8:11], 0 offen               // 0000000047D8: E0701000 80022C06
	buffer_store_dword v46, v6, s[8:11], 0 offen offset:128    // 0000000047E0: E0701080 80022E06
	s_mov_b64 exec, s[36:37]                                   // 0000000047E8: BEFE0124
	v_mov_b32_e32 v6, v39                                      // 0000000047EC: 7E0C0327
	s_mov_b64 s[60:61], 0                                      // 0000000047F0: BEBC0180
	v_readlane_b32 s82, v3, 2                                  // 0000000047F4: D2890052 00010503
	s_and_b32 s82, s82, 0xffffff                               // 0000000047FC: 8652FF52 00FFFFFF
	s_cmp_lt_u32 s82, s66                                      // 000000004804: BF0A4252
	s_cselect_b32 s20, s36, s60                                // 000000004808: 85143C24
	v_readlane_b32 s82, v3, 3                                  // 00000000480C: D2890052 00010703
	s_and_b32 s82, s82, 0xffffff                               // 000000004814: 8652FF52 00FFFFFF
	s_cmp_lt_u32 s82, s66                                      // 00000000481C: BF0A4252
	s_cselect_b32 s21, s36, s60                                // 000000004820: 85153C24
	s_mov_b64 exec, s[20:21]                                   // 000000004824: BEFE0114
	buffer_store_dword v45, v6, s[8:11], 0 offen               // 000000004828: E0701000 80022D06
	buffer_store_dword v47, v6, s[8:11], 0 offen offset:128    // 000000004830: E0701080 80022F06
	s_mov_b64 exec, s[36:37]                                   // 000000004838: BEFE0124
	v_mov_b32_e32 v6, v40                                      // 00000000483C: 7E0C0328
	s_mov_b64 s[60:61], 0                                      // 000000004840: BEBC0180
	v_readlane_b32 s82, v3, 4                                  // 000000004844: D2890052 00010903
	s_and_b32 s82, s82, 0xffffff                               // 00000000484C: 8652FF52 00FFFFFF
	s_cmp_lt_u32 s82, s66                                      // 000000004854: BF0A4252
	s_cselect_b32 s20, s36, s60                                // 000000004858: 85143C24
	v_readlane_b32 s82, v3, 5                                  // 00000000485C: D2890052 00010B03
	s_and_b32 s82, s82, 0xffffff                               // 000000004864: 8652FF52 00FFFFFF
	s_cmp_lt_u32 s82, s66                                      // 00000000486C: BF0A4252
	s_cselect_b32 s21, s36, s60                                // 000000004870: 85153C24
	s_mov_b64 exec, s[20:21]                                   // 000000004874: BEFE0114
	buffer_store_dword v48, v6, s[8:11], 0 offen               // 000000004878: E0701000 80023006
	buffer_store_dword v50, v6, s[8:11], 0 offen offset:128    // 000000004880: E0701080 80023206
	s_mov_b64 exec, s[36:37]                                   // 000000004888: BEFE0124
	v_mov_b32_e32 v6, v41                                      // 00000000488C: 7E0C0329
	s_mov_b64 s[60:61], 0                                      // 000000004890: BEBC0180
	v_readlane_b32 s82, v3, 6                                  // 000000004894: D2890052 00010D03
	s_and_b32 s82, s82, 0xffffff                               // 00000000489C: 8652FF52 00FFFFFF
	s_cmp_lt_u32 s82, s66                                      // 0000000048A4: BF0A4252
	s_cselect_b32 s20, s36, s60                                // 0000000048A8: 85143C24
	v_readlane_b32 s82, v3, 7                                  // 0000000048AC: D2890052 00010F03
	s_and_b32 s82, s82, 0xffffff                               // 0000000048B4: 8652FF52 00FFFFFF
	s_cmp_lt_u32 s82, s66                                      // 0000000048BC: BF0A4252
	s_cselect_b32 s21, s36, s60                                // 0000000048C0: 85153C24
	s_mov_b64 exec, s[20:21]                                   // 0000000048C4: BEFE0114
	buffer_store_dword v49, v6, s[8:11], 0 offen               // 0000000048C8: E0701000 80023106
	buffer_store_dword v51, v6, s[8:11], 0 offen offset:128    // 0000000048D0: E0701080 80023306
	s_mov_b64 exec, s[36:37]                                   // 0000000048D8: BEFE0124
	s_branch label_11D3                                        // 0000000048DC: BF820A18

00000000000048e0 <label_07B8>:
	ds_write_b64 v20, v[44:45]                                 // 0000000048E0: D89A0000 00002C14
	ds_write_b64 v20, v[48:49] offset:4352                     // 0000000048E8: D89A1100 00003014
	ds_write_b64 v20, v[52:53] offset:2176                     // 0000000048F0: D89A0880 00003414
	ds_write_b64 v20, v[56:57] offset:6528                     // 0000000048F8: D89A1980 00003814
	v_lshrrev_b32_e32 v4, 5, v0                                // 000000004900: 20080085
	v_xor_b32_e32 v5, 1, v4                                    // 000000004904: 2A0A0881
	s_mul_i32 s60, s65, 2                                      // 000000004908: 923C8241
	s_cmp_eq_u32 s88, 0                                        // 00000000490C: BF068058
	s_cselect_b32 s61, 1, 4                                    // 000000004910: 853D8481
	s_mul_i32 s60, s61, s60                                    // 000000004914: 923C3C3D
	v_readlane_b32 s82, v3, 0                                  // 000000004918: D2890052 00010103
	s_lshr_b32 s61, s82, 24                                    // 000000004920: 8F3D9852
	s_and_b32 s82, s82, 0xffffff                               // 000000004924: 8652FF52 00FFFFFF
	s_mul_i32 s82, s82, s71                                    // 00000000492C: 92524752
	s_mul_i32 s61, s60, s61                                    // 000000004930: 923D3D3C
	s_add_u32 s82, s82, s61                                    // 000000004934: 80523D52
	v_mul_lo_u32 v6, v5, s82                                   // 000000004938: D2850006 0000A505
	v_readlane_b32 s82, v3, 1                                  // 000000004940: D2890052 00010303
	s_lshr_b32 s61, s82, 24                                    // 000000004948: 8F3D9852
	s_and_b32 s82, s82, 0xffffff                               // 00000000494C: 8652FF52 00FFFFFF
	s_mul_i32 s82, s82, s71                                    // 000000004954: 92524752
	s_mul_i32 s61, s60, s61                                    // 000000004958: 923D3D3C
	s_add_u32 s82, s82, s61                                    // 00000000495C: 80523D52
	v_mul_lo_u32 v7, v4, s82                                   // 000000004960: D2850007 0000A504
	v_add_u32_e32 v38, v6, v7                                  // 000000004968: 684C0F06
	v_readlane_b32 s82, v3, 2                                  // 00000000496C: D2890052 00010503
	s_lshr_b32 s61, s82, 24                                    // 000000004974: 8F3D9852
	s_and_b32 s82, s82, 0xffffff                               // 000000004978: 8652FF52 00FFFFFF
	s_mul_i32 s82, s82, s71                                    // 000000004980: 92524752
	s_mul_i32 s61, s60, s61                                    // 000000004984: 923D3D3C
	s_add_u32 s82, s82, s61                                    // 000000004988: 80523D52
	v_mul_lo_u32 v6, v5, s82                                   // 00000000498C: D2850006 0000A505
	v_readlane_b32 s82, v3, 3                                  // 000000004994: D2890052 00010703
	s_lshr_b32 s61, s82, 24                                    // 00000000499C: 8F3D9852
	s_and_b32 s82, s82, 0xffffff                               // 0000000049A0: 8652FF52 00FFFFFF
	s_mul_i32 s82, s82, s71                                    // 0000000049A8: 92524752
	s_mul_i32 s61, s60, s61                                    // 0000000049AC: 923D3D3C
	s_add_u32 s82, s82, s61                                    // 0000000049B0: 80523D52
	v_mul_lo_u32 v7, v4, s82                                   // 0000000049B4: D2850007 0000A504
	v_add_u32_e32 v39, v6, v7                                  // 0000000049BC: 684E0F06
	v_readlane_b32 s82, v3, 4                                  // 0000000049C0: D2890052 00010903
	s_lshr_b32 s61, s82, 24                                    // 0000000049C8: 8F3D9852
	s_and_b32 s82, s82, 0xffffff                               // 0000000049CC: 8652FF52 00FFFFFF
	s_mul_i32 s82, s82, s71                                    // 0000000049D4: 92524752
	s_mul_i32 s61, s60, s61                                    // 0000000049D8: 923D3D3C
	s_add_u32 s82, s82, s61                                    // 0000000049DC: 80523D52
	v_mul_lo_u32 v6, v5, s82                                   // 0000000049E0: D2850006 0000A505
	v_readlane_b32 s82, v3, 5                                  // 0000000049E8: D2890052 00010B03
	s_lshr_b32 s61, s82, 24                                    // 0000000049F0: 8F3D9852
	s_and_b32 s82, s82, 0xffffff                               // 0000000049F4: 8652FF52 00FFFFFF
	s_mul_i32 s82, s82, s71                                    // 0000000049FC: 92524752
	s_mul_i32 s61, s60, s61                                    // 000000004A00: 923D3D3C
	s_add_u32 s82, s82, s61                                    // 000000004A04: 80523D52
	v_mul_lo_u32 v7, v4, s82                                   // 000000004A08: D2850007 0000A504
	v_add_u32_e32 v40, v6, v7                                  // 000000004A10: 68500F06
	v_readlane_b32 s82, v3, 6                                  // 000000004A14: D2890052 00010D03
	s_lshr_b32 s61, s82, 24                                    // 000000004A1C: 8F3D9852
	s_and_b32 s82, s82, 0xffffff                               // 000000004A20: 8652FF52 00FFFFFF
	s_mul_i32 s82, s82, s71                                    // 000000004A28: 92524752
	s_mul_i32 s61, s60, s61                                    // 000000004A2C: 923D3D3C
	s_add_u32 s82, s82, s61                                    // 000000004A30: 80523D52
	v_mul_lo_u32 v6, v5, s82                                   // 000000004A34: D2850006 0000A505
	v_readlane_b32 s82, v3, 7                                  // 000000004A3C: D2890052 00010F03
	s_lshr_b32 s61, s82, 24                                    // 000000004A44: 8F3D9852
	s_and_b32 s82, s82, 0xffffff                               // 000000004A48: 8652FF52 00FFFFFF
	s_mul_i32 s82, s82, s71                                    // 000000004A50: 92524752
	s_mul_i32 s61, s60, s61                                    // 000000004A54: 923D3D3C
	s_add_u32 s82, s82, s61                                    // 000000004A58: 80523D52
	v_mul_lo_u32 v7, v4, s82                                   // 000000004A5C: D2850007 0000A504
	v_add_u32_e32 v41, v6, v7                                  // 000000004A64: 68520F06
	v_and_b32_e32 v4, 31, v0                                   // 000000004A68: 2608009F
	v_lshrrev_b32_e32 v4, 1, v4                                // 000000004A6C: 20080881
	s_cmp_eq_u32 s88, 0                                        // 000000004A70: BF068058
	s_cselect_b32 s61, 2, 4                                    // 000000004A74: 853D8482
	v_mul_lo_u32 v4, v4, s61                                   // 000000004A78: D2850004 00007B04
	v_and_b32_e64 v5, v0, 1                                    // 000000004A80: D1130005 00010300
	v_add_u32_e32 v4, v4, v5                                   // 000000004A88: 68080B04
	v_lshlrev_b32_e32 v4, 2, v4                                // 000000004A8C: 24080882
	v_add_u32_e32 v38, v38, v4                                 // 000000004A90: 684C0926
	v_add_u32_e32 v39, v39, v4                                 // 000000004A94: 684E0927
	v_add_u32_e32 v40, v40, v4                                 // 000000004A98: 68500928
	v_add_u32_e32 v41, v41, v4                                 // 000000004A9C: 68520929
	s_waitcnt lgkmcnt(0)                                       // 000000004AA0: BF8CC07F
	s_barrier                                                  // 000000004AA4: BF8A0000
	ds_read_b32 v44, v21                                       // 000000004AA8: D86C0000 2C000015
	ds_read_b32 v45, v21 offset:64                             // 000000004AB0: D86C0040 2D000015
	ds_read_b32 v48, v21 offset:2176                           // 000000004AB8: D86C0880 30000015
	ds_read_b32 v49, v21 offset:2240                           // 000000004AC0: D86C08C0 31000015
	ds_read_b32 v52, v21 offset:4352                           // 000000004AC8: D86C1100 34000015
	ds_read_b32 v53, v21 offset:4416                           // 000000004AD0: D86C1140 35000015
	ds_read_b32 v56, v21 offset:6528                           // 000000004AD8: D86C1980 38000015
	ds_read_b32 v57, v21 offset:6592                           // 000000004AE0: D86C19C0 39000015
	s_waitcnt lgkmcnt(0)                                       // 000000004AE8: BF8CC07F
	s_mov_b32 s36, -1                                          // 000000004AEC: BEA400C1
	s_mov_b32 s37, -1                                          // 000000004AF0: BEA500C1
	v_mov_b32_e32 v7, 0                                        // 000000004AF4: 7E0E0280
	s_mov_b64 exec, s[36:37]                                   // 000000004AF8: BEFE0124
	v_mov_b32_e32 v6, v38                                      // 000000004AFC: 7E0C0326
	s_mov_b64 s[60:61], 0                                      // 000000004B00: BEBC0180
	v_readlane_b32 s82, v3, 0                                  // 000000004B04: D2890052 00010103
	s_and_b32 s82, s82, 0xffffff                               // 000000004B0C: 8652FF52 00FFFFFF
	s_cmp_lt_u32 s82, s66                                      // 000000004B14: BF0A4252
	s_cselect_b32 s20, s36, s60                                // 000000004B18: 85143C24
	v_readlane_b32 s82, v3, 1                                  // 000000004B1C: D2890052 00010303
	s_and_b32 s82, s82, 0xffffff                               // 000000004B24: 8652FF52 00FFFFFF
	s_cmp_lt_u32 s82, s66                                      // 000000004B2C: BF0A4252
	s_cselect_b32 s21, s36, s60                                // 000000004B30: 85153C24
	s_mov_b64 exec, s[20:21]                                   // 000000004B34: BEFE0114
	global_atomic_add_f32 v6, v44, s[8:9]                      // 000000004B38: DD348000 00082C06
	global_atomic_add_f32 v6, v48, s[8:9] offset:256           // 000000004B40: DD348100 00083006
	s_mov_b64 exec, s[36:37]                                   // 000000004B48: BEFE0124
	v_mov_b32_e32 v6, v39                                      // 000000004B4C: 7E0C0327
	s_mov_b64 s[60:61], 0                                      // 000000004B50: BEBC0180
	v_readlane_b32 s82, v3, 2                                  // 000000004B54: D2890052 00010503
	s_and_b32 s82, s82, 0xffffff                               // 000000004B5C: 8652FF52 00FFFFFF
	s_cmp_lt_u32 s82, s66                                      // 000000004B64: BF0A4252
	s_cselect_b32 s20, s36, s60                                // 000000004B68: 85143C24
	v_readlane_b32 s82, v3, 3                                  // 000000004B6C: D2890052 00010703
	s_and_b32 s82, s82, 0xffffff                               // 000000004B74: 8652FF52 00FFFFFF
	s_cmp_lt_u32 s82, s66                                      // 000000004B7C: BF0A4252
	s_cselect_b32 s21, s36, s60                                // 000000004B80: 85153C24
	s_mov_b64 exec, s[20:21]                                   // 000000004B84: BEFE0114
	global_atomic_add_f32 v6, v45, s[8:9]                      // 000000004B88: DD348000 00082D06
	global_atomic_add_f32 v6, v49, s[8:9] offset:256           // 000000004B90: DD348100 00083106
	s_mov_b64 exec, s[36:37]                                   // 000000004B98: BEFE0124
	v_mov_b32_e32 v6, v40                                      // 000000004B9C: 7E0C0328
	s_mov_b64 s[60:61], 0                                      // 000000004BA0: BEBC0180
	v_readlane_b32 s82, v3, 4                                  // 000000004BA4: D2890052 00010903
	s_and_b32 s82, s82, 0xffffff                               // 000000004BAC: 8652FF52 00FFFFFF
	s_cmp_lt_u32 s82, s66                                      // 000000004BB4: BF0A4252
	s_cselect_b32 s20, s36, s60                                // 000000004BB8: 85143C24
	v_readlane_b32 s82, v3, 5                                  // 000000004BBC: D2890052 00010B03
	s_and_b32 s82, s82, 0xffffff                               // 000000004BC4: 8652FF52 00FFFFFF
	s_cmp_lt_u32 s82, s66                                      // 000000004BCC: BF0A4252
	s_cselect_b32 s21, s36, s60                                // 000000004BD0: 85153C24
	s_mov_b64 exec, s[20:21]                                   // 000000004BD4: BEFE0114
	global_atomic_add_f32 v6, v52, s[8:9]                      // 000000004BD8: DD348000 00083406
	global_atomic_add_f32 v6, v56, s[8:9] offset:256           // 000000004BE0: DD348100 00083806
	s_mov_b64 exec, s[36:37]                                   // 000000004BE8: BEFE0124
	v_mov_b32_e32 v6, v41                                      // 000000004BEC: 7E0C0329
	s_mov_b64 s[60:61], 0                                      // 000000004BF0: BEBC0180
	v_readlane_b32 s82, v3, 6                                  // 000000004BF4: D2890052 00010D03
	s_and_b32 s82, s82, 0xffffff                               // 000000004BFC: 8652FF52 00FFFFFF
	s_cmp_lt_u32 s82, s66                                      // 000000004C04: BF0A4252
	s_cselect_b32 s20, s36, s60                                // 000000004C08: 85143C24
	v_readlane_b32 s82, v3, 7                                  // 000000004C0C: D2890052 00010F03
	s_and_b32 s82, s82, 0xffffff                               // 000000004C14: 8652FF52 00FFFFFF
	s_cmp_lt_u32 s82, s66                                      // 000000004C1C: BF0A4252
	s_cselect_b32 s21, s36, s60                                // 000000004C20: 85153C24
	s_mov_b64 exec, s[20:21]                                   // 000000004C24: BEFE0114
	global_atomic_add_f32 v6, v53, s[8:9]                      // 000000004C28: DD348000 00083506
	global_atomic_add_f32 v6, v57, s[8:9] offset:256           // 000000004C30: DD348100 00083906
	s_mov_b64 exec, s[36:37]                                   // 000000004C38: BEFE0124
	ds_write_b64 v20, v[46:47]                                 // 000000004C3C: D89A0000 00002E14
	ds_write_b64 v20, v[50:51] offset:4352                     // 000000004C44: D89A1100 00003214
	ds_write_b64 v20, v[54:55] offset:2176                     // 000000004C4C: D89A0880 00003614
	ds_write_b64 v20, v[58:59] offset:6528                     // 000000004C54: D89A1980 00003A14
	s_waitcnt lgkmcnt(0)                                       // 000000004C5C: BF8CC07F
	s_barrier                                                  // 000000004C60: BF8A0000
	ds_read_b32 v46, v21                                       // 000000004C64: D86C0000 2E000015
	ds_read_b32 v47, v21 offset:64                             // 000000004C6C: D86C0040 2F000015
	ds_read_b32 v50, v21 offset:2176                           // 000000004C74: D86C0880 32000015
	ds_read_b32 v51, v21 offset:2240                           // 000000004C7C: D86C08C0 33000015
	ds_read_b32 v54, v21 offset:4352                           // 000000004C84: D86C1100 36000015
	ds_read_b32 v55, v21 offset:4416                           // 000000004C8C: D86C1140 37000015
	ds_read_b32 v58, v21 offset:6528                           // 000000004C94: D86C1980 3A000015
	ds_read_b32 v59, v21 offset:6592                           // 000000004C9C: D86C19C0 3B000015
	s_waitcnt lgkmcnt(0)                                       // 000000004CA4: BF8CC07F
	v_mov_b32_e32 v7, 0                                        // 000000004CA8: 7E0E0280
	s_mov_b64 exec, s[36:37]                                   // 000000004CAC: BEFE0124
	v_mov_b32_e32 v6, v38                                      // 000000004CB0: 7E0C0326
	s_mov_b64 s[60:61], 0                                      // 000000004CB4: BEBC0180
	v_readlane_b32 s82, v3, 0                                  // 000000004CB8: D2890052 00010103
	s_and_b32 s82, s82, 0xffffff                               // 000000004CC0: 8652FF52 00FFFFFF
	s_cmp_lt_u32 s82, s66                                      // 000000004CC8: BF0A4252
	s_cselect_b32 s20, s36, s60                                // 000000004CCC: 85143C24
	v_readlane_b32 s82, v3, 1                                  // 000000004CD0: D2890052 00010303
	s_and_b32 s82, s82, 0xffffff                               // 000000004CD8: 8652FF52 00FFFFFF
	s_cmp_lt_u32 s82, s66                                      // 000000004CE0: BF0A4252
	s_cselect_b32 s21, s36, s60                                // 000000004CE4: 85153C24
	s_mov_b64 exec, s[20:21]                                   // 000000004CE8: BEFE0114
	global_atomic_add_f32 v6, v46, s[8:9] offset:8             // 000000004CEC: DD348008 00082E06
	global_atomic_add_f32 v6, v50, s[8:9] offset:264           // 000000004CF4: DD348108 00083206
	s_mov_b64 exec, s[36:37]                                   // 000000004CFC: BEFE0124
	v_mov_b32_e32 v6, v39                                      // 000000004D00: 7E0C0327
	s_mov_b64 s[60:61], 0                                      // 000000004D04: BEBC0180
	v_readlane_b32 s82, v3, 2                                  // 000000004D08: D2890052 00010503
	s_and_b32 s82, s82, 0xffffff                               // 000000004D10: 8652FF52 00FFFFFF
	s_cmp_lt_u32 s82, s66                                      // 000000004D18: BF0A4252
	s_cselect_b32 s20, s36, s60                                // 000000004D1C: 85143C24
	v_readlane_b32 s82, v3, 3                                  // 000000004D20: D2890052 00010703
	s_and_b32 s82, s82, 0xffffff                               // 000000004D28: 8652FF52 00FFFFFF
	s_cmp_lt_u32 s82, s66                                      // 000000004D30: BF0A4252
	s_cselect_b32 s21, s36, s60                                // 000000004D34: 85153C24
	s_mov_b64 exec, s[20:21]                                   // 000000004D38: BEFE0114
	global_atomic_add_f32 v6, v47, s[8:9] offset:8             // 000000004D3C: DD348008 00082F06
	global_atomic_add_f32 v6, v51, s[8:9] offset:264           // 000000004D44: DD348108 00083306
	s_mov_b64 exec, s[36:37]                                   // 000000004D4C: BEFE0124
	v_mov_b32_e32 v6, v40                                      // 000000004D50: 7E0C0328
	s_mov_b64 s[60:61], 0                                      // 000000004D54: BEBC0180
	v_readlane_b32 s82, v3, 4                                  // 000000004D58: D2890052 00010903
	s_and_b32 s82, s82, 0xffffff                               // 000000004D60: 8652FF52 00FFFFFF
	s_cmp_lt_u32 s82, s66                                      // 000000004D68: BF0A4252
	s_cselect_b32 s20, s36, s60                                // 000000004D6C: 85143C24
	v_readlane_b32 s82, v3, 5                                  // 000000004D70: D2890052 00010B03
	s_and_b32 s82, s82, 0xffffff                               // 000000004D78: 8652FF52 00FFFFFF
	s_cmp_lt_u32 s82, s66                                      // 000000004D80: BF0A4252
	s_cselect_b32 s21, s36, s60                                // 000000004D84: 85153C24
	s_mov_b64 exec, s[20:21]                                   // 000000004D88: BEFE0114
	global_atomic_add_f32 v6, v54, s[8:9] offset:8             // 000000004D8C: DD348008 00083606
	global_atomic_add_f32 v6, v58, s[8:9] offset:264           // 000000004D94: DD348108 00083A06
	s_mov_b64 exec, s[36:37]                                   // 000000004D9C: BEFE0124
	v_mov_b32_e32 v6, v41                                      // 000000004DA0: 7E0C0329
	s_mov_b64 s[60:61], 0                                      // 000000004DA4: BEBC0180
	v_readlane_b32 s82, v3, 6                                  // 000000004DA8: D2890052 00010D03
	s_and_b32 s82, s82, 0xffffff                               // 000000004DB0: 8652FF52 00FFFFFF
	s_cmp_lt_u32 s82, s66                                      // 000000004DB8: BF0A4252
	s_cselect_b32 s20, s36, s60                                // 000000004DBC: 85143C24
	v_readlane_b32 s82, v3, 7                                  // 000000004DC0: D2890052 00010F03
	s_and_b32 s82, s82, 0xffffff                               // 000000004DC8: 8652FF52 00FFFFFF
	s_cmp_lt_u32 s82, s66                                      // 000000004DD0: BF0A4252
	s_cselect_b32 s21, s36, s60                                // 000000004DD4: 85153C24
	s_mov_b64 exec, s[20:21]                                   // 000000004DD8: BEFE0114
	global_atomic_add_f32 v6, v55, s[8:9] offset:8             // 000000004DDC: DD348008 00083706
	global_atomic_add_f32 v6, v59, s[8:9] offset:264           // 000000004DE4: DD348108 00083B06
	s_mov_b64 exec, s[36:37]                                   // 000000004DEC: BEFE0124
	ds_write_b64 v20, v[60:61]                                 // 000000004DF0: D89A0000 00003C14
	ds_write_b64 v20, v[64:65] offset:4352                     // 000000004DF8: D89A1100 00004014
	ds_write_b64 v20, v[68:69] offset:2176                     // 000000004E00: D89A0880 00004414
	ds_write_b64 v20, v[72:73] offset:6528                     // 000000004E08: D89A1980 00004814
	s_waitcnt lgkmcnt(0)                                       // 000000004E10: BF8CC07F
	s_barrier                                                  // 000000004E14: BF8A0000
	ds_read_b32 v60, v21                                       // 000000004E18: D86C0000 3C000015
	ds_read_b32 v61, v21 offset:64                             // 000000004E20: D86C0040 3D000015
	ds_read_b32 v64, v21 offset:2176                           // 000000004E28: D86C0880 40000015
	ds_read_b32 v65, v21 offset:2240                           // 000000004E30: D86C08C0 41000015
	ds_read_b32 v68, v21 offset:4352                           // 000000004E38: D86C1100 44000015
	ds_read_b32 v69, v21 offset:4416                           // 000000004E40: D86C1140 45000015
	ds_read_b32 v72, v21 offset:6528                           // 000000004E48: D86C1980 48000015
	ds_read_b32 v73, v21 offset:6592                           // 000000004E50: D86C19C0 49000015
	s_mul_i32 s60, s65, 4                                      // 000000004E58: 923C8441
	s_add_u32 s8, s60, s8                                      // 000000004E5C: 8008083C
	s_addc_u32 s9, 0, s9                                       // 000000004E60: 82090980
	s_waitcnt lgkmcnt(0)                                       // 000000004E64: BF8CC07F
	v_mov_b32_e32 v7, 0                                        // 000000004E68: 7E0E0280
	s_mov_b64 exec, s[36:37]                                   // 000000004E6C: BEFE0124
	v_mov_b32_e32 v6, v38                                      // 000000004E70: 7E0C0326
	s_mov_b64 s[60:61], 0                                      // 000000004E74: BEBC0180
	v_readlane_b32 s82, v3, 0                                  // 000000004E78: D2890052 00010103
	s_and_b32 s82, s82, 0xffffff                               // 000000004E80: 8652FF52 00FFFFFF
	s_cmp_lt_u32 s82, s66                                      // 000000004E88: BF0A4252
	s_cselect_b32 s20, s36, s60                                // 000000004E8C: 85143C24
	v_readlane_b32 s82, v3, 1                                  // 000000004E90: D2890052 00010303
	s_and_b32 s82, s82, 0xffffff                               // 000000004E98: 8652FF52 00FFFFFF
	s_cmp_lt_u32 s82, s66                                      // 000000004EA0: BF0A4252
	s_cselect_b32 s21, s36, s60                                // 000000004EA4: 85153C24
	s_mov_b64 exec, s[20:21]                                   // 000000004EA8: BEFE0114
	global_atomic_add_f32 v6, v60, s[8:9]                      // 000000004EAC: DD348000 00083C06
	global_atomic_add_f32 v6, v64, s[8:9] offset:256           // 000000004EB4: DD348100 00084006
	s_mov_b64 exec, s[36:37]                                   // 000000004EBC: BEFE0124
	v_mov_b32_e32 v6, v39                                      // 000000004EC0: 7E0C0327
	s_mov_b64 s[60:61], 0                                      // 000000004EC4: BEBC0180
	v_readlane_b32 s82, v3, 2                                  // 000000004EC8: D2890052 00010503
	s_and_b32 s82, s82, 0xffffff                               // 000000004ED0: 8652FF52 00FFFFFF
	s_cmp_lt_u32 s82, s66                                      // 000000004ED8: BF0A4252
	s_cselect_b32 s20, s36, s60                                // 000000004EDC: 85143C24
	v_readlane_b32 s82, v3, 3                                  // 000000004EE0: D2890052 00010703
	s_and_b32 s82, s82, 0xffffff                               // 000000004EE8: 8652FF52 00FFFFFF
	s_cmp_lt_u32 s82, s66                                      // 000000004EF0: BF0A4252
	s_cselect_b32 s21, s36, s60                                // 000000004EF4: 85153C24
	s_mov_b64 exec, s[20:21]                                   // 000000004EF8: BEFE0114
	global_atomic_add_f32 v6, v61, s[8:9]                      // 000000004EFC: DD348000 00083D06
	global_atomic_add_f32 v6, v65, s[8:9] offset:256           // 000000004F04: DD348100 00084106
	s_mov_b64 exec, s[36:37]                                   // 000000004F0C: BEFE0124
	v_mov_b32_e32 v6, v40                                      // 000000004F10: 7E0C0328
	s_mov_b64 s[60:61], 0                                      // 000000004F14: BEBC0180
	v_readlane_b32 s82, v3, 4                                  // 000000004F18: D2890052 00010903
	s_and_b32 s82, s82, 0xffffff                               // 000000004F20: 8652FF52 00FFFFFF
	s_cmp_lt_u32 s82, s66                                      // 000000004F28: BF0A4252
	s_cselect_b32 s20, s36, s60                                // 000000004F2C: 85143C24
	v_readlane_b32 s82, v3, 5                                  // 000000004F30: D2890052 00010B03
	s_and_b32 s82, s82, 0xffffff                               // 000000004F38: 8652FF52 00FFFFFF
	s_cmp_lt_u32 s82, s66                                      // 000000004F40: BF0A4252
	s_cselect_b32 s21, s36, s60                                // 000000004F44: 85153C24
	s_mov_b64 exec, s[20:21]                                   // 000000004F48: BEFE0114
	global_atomic_add_f32 v6, v68, s[8:9]                      // 000000004F4C: DD348000 00084406
	global_atomic_add_f32 v6, v72, s[8:9] offset:256           // 000000004F54: DD348100 00084806
	s_mov_b64 exec, s[36:37]                                   // 000000004F5C: BEFE0124
	v_mov_b32_e32 v6, v41                                      // 000000004F60: 7E0C0329
	s_mov_b64 s[60:61], 0                                      // 000000004F64: BEBC0180
	v_readlane_b32 s82, v3, 6                                  // 000000004F68: D2890052 00010D03
	s_and_b32 s82, s82, 0xffffff                               // 000000004F70: 8652FF52 00FFFFFF
	s_cmp_lt_u32 s82, s66                                      // 000000004F78: BF0A4252
	s_cselect_b32 s20, s36, s60                                // 000000004F7C: 85143C24
	v_readlane_b32 s82, v3, 7                                  // 000000004F80: D2890052 00010F03
	s_and_b32 s82, s82, 0xffffff                               // 000000004F88: 8652FF52 00FFFFFF
	s_cmp_lt_u32 s82, s66                                      // 000000004F90: BF0A4252
	s_cselect_b32 s21, s36, s60                                // 000000004F94: 85153C24
	s_mov_b64 exec, s[20:21]                                   // 000000004F98: BEFE0114
	global_atomic_add_f32 v6, v69, s[8:9]                      // 000000004F9C: DD348000 00084506
	global_atomic_add_f32 v6, v73, s[8:9] offset:256           // 000000004FA4: DD348100 00084906
	s_mov_b64 exec, s[36:37]                                   // 000000004FAC: BEFE0124
	ds_write_b64 v20, v[62:63]                                 // 000000004FB0: D89A0000 00003E14
	ds_write_b64 v20, v[66:67] offset:4352                     // 000000004FB8: D89A1100 00004214
	ds_write_b64 v20, v[70:71] offset:2176                     // 000000004FC0: D89A0880 00004614
	ds_write_b64 v20, v[74:75] offset:6528                     // 000000004FC8: D89A1980 00004A14
	s_waitcnt lgkmcnt(0)                                       // 000000004FD0: BF8CC07F
	s_barrier                                                  // 000000004FD4: BF8A0000
	ds_read_b32 v62, v21                                       // 000000004FD8: D86C0000 3E000015
	ds_read_b32 v63, v21 offset:64                             // 000000004FE0: D86C0040 3F000015
	ds_read_b32 v66, v21 offset:2176                           // 000000004FE8: D86C0880 42000015
	ds_read_b32 v67, v21 offset:2240                           // 000000004FF0: D86C08C0 43000015
	ds_read_b32 v70, v21 offset:4352                           // 000000004FF8: D86C1100 46000015
	ds_read_b32 v71, v21 offset:4416                           // 000000005000: D86C1140 47000015
	ds_read_b32 v74, v21 offset:6528                           // 000000005008: D86C1980 4A000015
	ds_read_b32 v75, v21 offset:6592                           // 000000005010: D86C19C0 4B000015
	s_waitcnt lgkmcnt(0)                                       // 000000005018: BF8CC07F
	v_mov_b32_e32 v7, 0                                        // 00000000501C: 7E0E0280
	s_mov_b64 exec, s[36:37]                                   // 000000005020: BEFE0124
	v_mov_b32_e32 v6, v38                                      // 000000005024: 7E0C0326
	s_mov_b64 s[60:61], 0                                      // 000000005028: BEBC0180
	v_readlane_b32 s82, v3, 0                                  // 00000000502C: D2890052 00010103
	s_and_b32 s82, s82, 0xffffff                               // 000000005034: 8652FF52 00FFFFFF
	s_cmp_lt_u32 s82, s66                                      // 00000000503C: BF0A4252
	s_cselect_b32 s20, s36, s60                                // 000000005040: 85143C24
	v_readlane_b32 s82, v3, 1                                  // 000000005044: D2890052 00010303
	s_and_b32 s82, s82, 0xffffff                               // 00000000504C: 8652FF52 00FFFFFF
	s_cmp_lt_u32 s82, s66                                      // 000000005054: BF0A4252
	s_cselect_b32 s21, s36, s60                                // 000000005058: 85153C24
	s_mov_b64 exec, s[20:21]                                   // 00000000505C: BEFE0114
	global_atomic_add_f32 v6, v62, s[8:9] offset:8             // 000000005060: DD348008 00083E06
	global_atomic_add_f32 v6, v66, s[8:9] offset:264           // 000000005068: DD348108 00084206
	s_mov_b64 exec, s[36:37]                                   // 000000005070: BEFE0124
	v_mov_b32_e32 v6, v39                                      // 000000005074: 7E0C0327
	s_mov_b64 s[60:61], 0                                      // 000000005078: BEBC0180
	v_readlane_b32 s82, v3, 2                                  // 00000000507C: D2890052 00010503
	s_and_b32 s82, s82, 0xffffff                               // 000000005084: 8652FF52 00FFFFFF
	s_cmp_lt_u32 s82, s66                                      // 00000000508C: BF0A4252
	s_cselect_b32 s20, s36, s60                                // 000000005090: 85143C24
	v_readlane_b32 s82, v3, 3                                  // 000000005094: D2890052 00010703
	s_and_b32 s82, s82, 0xffffff                               // 00000000509C: 8652FF52 00FFFFFF
	s_cmp_lt_u32 s82, s66                                      // 0000000050A4: BF0A4252
	s_cselect_b32 s21, s36, s60                                // 0000000050A8: 85153C24
	s_mov_b64 exec, s[20:21]                                   // 0000000050AC: BEFE0114
	global_atomic_add_f32 v6, v63, s[8:9] offset:8             // 0000000050B0: DD348008 00083F06
	global_atomic_add_f32 v6, v67, s[8:9] offset:264           // 0000000050B8: DD348108 00084306
	s_mov_b64 exec, s[36:37]                                   // 0000000050C0: BEFE0124
	v_mov_b32_e32 v6, v40                                      // 0000000050C4: 7E0C0328
	s_mov_b64 s[60:61], 0                                      // 0000000050C8: BEBC0180
	v_readlane_b32 s82, v3, 4                                  // 0000000050CC: D2890052 00010903
	s_and_b32 s82, s82, 0xffffff                               // 0000000050D4: 8652FF52 00FFFFFF
	s_cmp_lt_u32 s82, s66                                      // 0000000050DC: BF0A4252
	s_cselect_b32 s20, s36, s60                                // 0000000050E0: 85143C24
	v_readlane_b32 s82, v3, 5                                  // 0000000050E4: D2890052 00010B03
	s_and_b32 s82, s82, 0xffffff                               // 0000000050EC: 8652FF52 00FFFFFF
	s_cmp_lt_u32 s82, s66                                      // 0000000050F4: BF0A4252
	s_cselect_b32 s21, s36, s60                                // 0000000050F8: 85153C24
	s_mov_b64 exec, s[20:21]                                   // 0000000050FC: BEFE0114
	global_atomic_add_f32 v6, v70, s[8:9] offset:8             // 000000005100: DD348008 00084606
	global_atomic_add_f32 v6, v74, s[8:9] offset:264           // 000000005108: DD348108 00084A06
	s_mov_b64 exec, s[36:37]                                   // 000000005110: BEFE0124
	v_mov_b32_e32 v6, v41                                      // 000000005114: 7E0C0329
	s_mov_b64 s[60:61], 0                                      // 000000005118: BEBC0180
	v_readlane_b32 s82, v3, 6                                  // 00000000511C: D2890052 00010D03
	s_and_b32 s82, s82, 0xffffff                               // 000000005124: 8652FF52 00FFFFFF
	s_cmp_lt_u32 s82, s66                                      // 00000000512C: BF0A4252
	s_cselect_b32 s20, s36, s60                                // 000000005130: 85143C24
	v_readlane_b32 s82, v3, 7                                  // 000000005134: D2890052 00010F03
	s_and_b32 s82, s82, 0xffffff                               // 00000000513C: 8652FF52 00FFFFFF
	s_cmp_lt_u32 s82, s66                                      // 000000005144: BF0A4252
	s_cselect_b32 s21, s36, s60                                // 000000005148: 85153C24
	s_mov_b64 exec, s[20:21]                                   // 00000000514C: BEFE0114
	global_atomic_add_f32 v6, v71, s[8:9] offset:8             // 000000005150: DD348008 00084706
	global_atomic_add_f32 v6, v75, s[8:9] offset:264           // 000000005158: DD348108 00084B06
	s_mov_b64 exec, s[36:37]                                   // 000000005160: BEFE0124
	s_branch label_11D3                                        // 000000005164: BF8207F6

0000000000005168 <label_09DD>:
	s_waitcnt vmcnt(8) lgkmcnt(0)                              // 000000005168: BF8C0078
	v_mfma_f32_16x16x32_fp8_fp8 v[44:47], a[32:33], a[0:1], v[44:47]// 00000000516C: D3F3002C 1CB20120
	buffer_load_dwordx4 a[64:67], v42, s[24:27], 0 offen       // 000000005174: E05C1000 8086402A
	v_mfma_f32_16x16x32_fp8_fp8 v[44:47], a[34:35], a[2:3], v[44:47]// 00000000517C: D3F3002C 1CB20522
	v_mfma_f32_16x16x32_fp8_fp8 v[44:47], a[36:37], a[4:5], v[44:47]// 000000005184: D3F3002C 1CB20924
	v_mfma_f32_16x16x32_fp8_fp8 v[44:47], a[38:39], a[6:7], v[44:47]// 00000000518C: D3F3002C 1CB20D26
	v_mfma_f32_16x16x32_fp8_fp8 v[52:55], a[40:41], a[0:1], v[52:55]// 000000005194: D3F30034 1CD20128
	buffer_load_dwordx4 a[68:71], v42, s[24:27], 0 offen offset:1024// 00000000519C: E05C1400 8086442A
	v_mfma_f32_16x16x32_fp8_fp8 v[52:55], a[42:43], a[2:3], v[52:55]// 0000000051A4: D3F30034 1CD2052A
	v_mfma_f32_16x16x32_fp8_fp8 v[52:55], a[44:45], a[4:5], v[52:55]// 0000000051AC: D3F30034 1CD2092C
	v_mfma_f32_16x16x32_fp8_fp8 v[52:55], a[46:47], a[6:7], v[52:55]// 0000000051B4: D3F30034 1CD20D2E
	v_mfma_f32_16x16x32_fp8_fp8 v[48:51], a[32:33], a[8:9], v[48:51]// 0000000051BC: D3F30030 1CC21120
	buffer_load_dwordx4 a[72:75], v43, s[24:27], 0 offen       // 0000000051C4: E05C1000 8086482B
	v_mfma_f32_16x16x32_fp8_fp8 v[48:51], a[34:35], a[10:11], v[48:51]// 0000000051CC: D3F30030 1CC21522
	v_mfma_f32_16x16x32_fp8_fp8 v[48:51], a[36:37], a[12:13], v[48:51]// 0000000051D4: D3F30030 1CC21924
	v_mfma_f32_16x16x32_fp8_fp8 v[48:51], a[38:39], a[14:15], v[48:51]// 0000000051DC: D3F30030 1CC21D26
	v_mfma_f32_16x16x32_fp8_fp8 v[56:59], a[40:41], a[8:9], v[56:59]// 0000000051E4: D3F30038 1CE21128
	buffer_load_dwordx4 a[76:79], v43, s[24:27], 0 offen offset:1024// 0000000051EC: E05C1400 80864C2B
	buffer_load_dword v38, s[20:23], 0 offen lds               // 0000000051F4: E0511000 80050026
	s_add_u32 m0, 0x100, s50                                   // 0000000051FC: 807C32FF 00000100
	v_mfma_f32_16x16x32_fp8_fp8 v[56:59], a[42:43], a[10:11], v[56:59]// 000000005204: D3F30038 1CE2152A
	v_mfma_f32_16x16x32_fp8_fp8 v[56:59], a[44:45], a[12:13], v[56:59]// 00000000520C: D3F30038 1CE2192C
	buffer_load_dword v39, s[20:23], 0 offen lds               // 000000005214: E0511000 80050027
	s_add_u32 m0, 0x200, s50                                   // 00000000521C: 807C32FF 00000200
	v_mfma_f32_16x16x32_fp8_fp8 v[56:59], a[46:47], a[14:15], v[56:59]// 000000005224: D3F30038 1CE21D2E
	buffer_load_dword v40, s[20:23], 0 offen lds               // 00000000522C: E0511000 80050028
	s_add_u32 m0, 0x300, s50                                   // 000000005234: 807C32FF 00000300
	buffer_load_dword v41, s[20:23], 0 offen lds               // 00000000523C: E0511000 80050029
	s_add_u32 m0, 0, s48                                       // 000000005244: 807C3080
	s_waitcnt vmcnt(8)                                         // 000000005248: BF8C0F78
	s_barrier                                                  // 00000000524C: BF8A0000
	v_mfma_f32_16x16x32_fp8_fp8 v[60:63], a[48:49], a[0:1], v[60:63]// 000000005250: D3F3003C 1CF20130
	buffer_load_dwordx4 a[32:35], v42, s[84:87], 0 offen       // 000000005258: E05C1000 8095202A
	v_mfma_f32_16x16x32_fp8_fp8 v[60:63], a[50:51], a[2:3], v[60:63]// 000000005260: D3F3003C 1CF20532
	v_mfma_f32_16x16x32_fp8_fp8 v[60:63], a[52:53], a[4:5], v[60:63]// 000000005268: D3F3003C 1CF20934
	ds_read_b128 a[16:19], v2 offset:4224                      // 000000005270: DBFE1080 10000002
	ds_read_b128 a[20:23], v2 offset:4288                      // 000000005278: DBFE10C0 14000002
	v_mfma_f32_16x16x32_fp8_fp8 v[60:63], a[54:55], a[6:7], v[60:63]// 000000005280: D3F3003C 1CF20D36
	v_mfma_f32_16x16x32_fp8_fp8 v[68:71], a[56:57], a[0:1], v[68:71]// 000000005288: D3F30044 1D120138
	buffer_load_dwordx4 a[36:39], v42, s[84:87], 0 offen offset:1024// 000000005290: E05C1400 8095242A
	v_mfma_f32_16x16x32_fp8_fp8 v[68:71], a[58:59], a[2:3], v[68:71]// 000000005298: D3F30044 1D12053A
	v_mfma_f32_16x16x32_fp8_fp8 v[68:71], a[60:61], a[4:5], v[68:71]// 0000000052A0: D3F30044 1D12093C
	ds_read_b128 a[24:27], v2 offset:4736                      // 0000000052A8: DBFE1280 18000002
	ds_read_b128 a[28:31], v2 offset:4800                      // 0000000052B0: DBFE12C0 1C000002
	v_mfma_f32_16x16x32_fp8_fp8 v[68:71], a[62:63], a[6:7], v[68:71]// 0000000052B8: D3F30044 1D120D3E
	v_mfma_f32_16x16x32_fp8_fp8 v[64:67], a[48:49], a[8:9], v[64:67]// 0000000052C0: D3F30040 1D021130
	buffer_load_dwordx4 a[40:43], v43, s[84:87], 0 offen       // 0000000052C8: E05C1000 8095282B
	s_add_u32 s60, 0x180, s80                                  // 0000000052D0: 803C50FF 00000180
	s_cmp_lt_u32 s60, s81                                      // 0000000052D8: BF0A513C
	s_cselect_b32 s57, s57, 0                                  // 0000000052DC: 85398039
	v_mfma_f32_16x16x32_fp8_fp8 v[64:67], a[50:51], a[10:11], v[64:67]// 0000000052E0: D3F30040 1D021532
	s_add_u32 s60, 0x100, s80                                  // 0000000052E8: 803C50FF 00000100
	s_cmp_lt_u32 s60, s81                                      // 0000000052F0: BF0A513C
	s_cselect_b32 s58, s58, 0                                  // 0000000052F4: 853A803A
	v_mfma_f32_16x16x32_fp8_fp8 v[64:67], a[52:53], a[12:13], v[64:67]// 0000000052F8: D3F30040 1D021934
	s_add_u32 s60, 0x100, s80                                  // 000000005300: 803C50FF 00000100
	s_cmp_lt_u32 s60, s81                                      // 000000005308: BF0A513C
	s_cselect_b32 s83, s83, 0                                  // 00000000530C: 85538053
	v_mfma_f32_16x16x32_fp8_fp8 v[64:67], a[54:55], a[14:15], v[64:67]// 000000005310: D3F30040 1D021D36
	s_add_u32 s24, s58, s24                                    // 000000005318: 8018183A
	s_addc_u32 s25, 0, s25                                     // 00000000531C: 82191980
	v_mfma_f32_16x16x32_fp8_fp8 v[72:75], a[56:57], a[8:9], v[72:75]// 000000005320: D3F30048 1D221138
	buffer_load_dwordx4 a[44:47], v43, s[84:87], 0 offen offset:1024// 000000005328: E05C1400 80952C2B
	s_add_u32 s20, s57, s20                                    // 000000005330: 80141439
	s_addc_u32 s21, 0, s21                                     // 000000005334: 82151580
	v_mfma_f32_16x16x32_fp8_fp8 v[72:75], a[58:59], a[10:11], v[72:75]// 000000005338: D3F30048 1D22153A
	s_add_u32 s84, s83, s84                                    // 000000005340: 80545453
	s_addc_u32 s85, 0, s85                                     // 000000005344: 82555580
	v_mfma_f32_16x16x32_fp8_fp8 v[72:75], a[60:61], a[12:13], v[72:75]// 000000005348: D3F30048 1D22193C
	v_mfma_f32_16x16x32_fp8_fp8 v[72:75], a[62:63], a[14:15], v[72:75]// 000000005350: D3F30048 1D221D3E
	s_addk_i32 s80, 0x80                                       // 000000005358: B7500080
	s_cmp_lt_i32 s80, s81                                      // 00000000535C: BF045150
	s_cbranch_scc0 label_0CD8                                  // 000000005360: BF84027C
	s_waitcnt vmcnt(8) lgkmcnt(0)                              // 000000005364: BF8C0078
	v_mfma_f32_16x16x32_fp8_fp8 v[44:47], a[64:65], a[16:17], v[44:47]// 000000005368: D3F3002C 1CB22140
	buffer_load_dwordx4 a[48:51], v42, s[24:27], 0 offen       // 000000005370: E05C1000 8086302A
	v_mfma_f32_16x16x32_fp8_fp8 v[44:47], a[66:67], a[18:19], v[44:47]// 000000005378: D3F3002C 1CB22542
	v_mfma_f32_16x16x32_fp8_fp8 v[44:47], a[68:69], a[20:21], v[44:47]// 000000005380: D3F3002C 1CB22944
	v_mfma_f32_16x16x32_fp8_fp8 v[44:47], a[70:71], a[22:23], v[44:47]// 000000005388: D3F3002C 1CB22D46
	v_mfma_f32_16x16x32_fp8_fp8 v[52:55], a[72:73], a[16:17], v[52:55]// 000000005390: D3F30034 1CD22148
	buffer_load_dwordx4 a[52:55], v42, s[24:27], 0 offen offset:1024// 000000005398: E05C1400 8086342A
	v_mfma_f32_16x16x32_fp8_fp8 v[52:55], a[74:75], a[18:19], v[52:55]// 0000000053A0: D3F30034 1CD2254A
	v_mfma_f32_16x16x32_fp8_fp8 v[52:55], a[76:77], a[20:21], v[52:55]// 0000000053A8: D3F30034 1CD2294C
	v_mfma_f32_16x16x32_fp8_fp8 v[52:55], a[78:79], a[22:23], v[52:55]// 0000000053B0: D3F30034 1CD22D4E
	v_mfma_f32_16x16x32_fp8_fp8 v[48:51], a[64:65], a[24:25], v[48:51]// 0000000053B8: D3F30030 1CC23140
	buffer_load_dwordx4 a[56:59], v43, s[24:27], 0 offen       // 0000000053C0: E05C1000 8086382B
	v_mfma_f32_16x16x32_fp8_fp8 v[48:51], a[66:67], a[26:27], v[48:51]// 0000000053C8: D3F30030 1CC23542
	v_mfma_f32_16x16x32_fp8_fp8 v[48:51], a[68:69], a[28:29], v[48:51]// 0000000053D0: D3F30030 1CC23944
	v_mfma_f32_16x16x32_fp8_fp8 v[48:51], a[70:71], a[30:31], v[48:51]// 0000000053D8: D3F30030 1CC23D46
	v_mfma_f32_16x16x32_fp8_fp8 v[56:59], a[72:73], a[24:25], v[56:59]// 0000000053E0: D3F30038 1CE23148
	buffer_load_dwordx4 a[60:63], v43, s[24:27], 0 offen offset:1024// 0000000053E8: E05C1400 80863C2B
	buffer_load_dword v38, s[20:23], 0 offen lds               // 0000000053F0: E0511000 80050026
	s_add_u32 m0, 0x100, s48                                   // 0000000053F8: 807C30FF 00000100
	v_mfma_f32_16x16x32_fp8_fp8 v[56:59], a[74:75], a[26:27], v[56:59]// 000000005400: D3F30038 1CE2354A
	v_mfma_f32_16x16x32_fp8_fp8 v[56:59], a[76:77], a[28:29], v[56:59]// 000000005408: D3F30038 1CE2394C
	buffer_load_dword v39, s[20:23], 0 offen lds               // 000000005410: E0511000 80050027
	s_add_u32 m0, 0x200, s48                                   // 000000005418: 807C30FF 00000200
	v_mfma_f32_16x16x32_fp8_fp8 v[56:59], a[78:79], a[30:31], v[56:59]// 000000005420: D3F30038 1CE23D4E
	buffer_load_dword v40, s[20:23], 0 offen lds               // 000000005428: E0511000 80050028
	s_add_u32 m0, 0x300, s48                                   // 000000005430: 807C30FF 00000300
	buffer_load_dword v41, s[20:23], 0 offen lds               // 000000005438: E0511000 80050029
	s_add_u32 m0, 0, s49                                       // 000000005440: 807C3180
	s_waitcnt vmcnt(8)                                         // 000000005444: BF8C0F78
	s_barrier                                                  // 000000005448: BF8A0000
	v_mfma_f32_16x16x32_fp8_fp8 v[60:63], a[32:33], a[16:17], v[60:63]// 00000000544C: D3F3003C 1CF22120
	buffer_load_dwordx4 a[64:67], v42, s[84:87], 0 offen       // 000000005454: E05C1000 8095402A
	v_mfma_f32_16x16x32_fp8_fp8 v[60:63], a[34:35], a[18:19], v[60:63]// 00000000545C: D3F3003C 1CF22522
	v_mfma_f32_16x16x32_fp8_fp8 v[60:63], a[36:37], a[20:21], v[60:63]// 000000005464: D3F3003C 1CF22924
	ds_read_b128 a[0:3], v2 offset:8448                        // 00000000546C: DBFE2100 00000002
	ds_read_b128 a[4:7], v2 offset:8512                        // 000000005474: DBFE2140 04000002
	v_mfma_f32_16x16x32_fp8_fp8 v[60:63], a[38:39], a[22:23], v[60:63]// 00000000547C: D3F3003C 1CF22D26
	v_mfma_f32_16x16x32_fp8_fp8 v[68:71], a[40:41], a[16:17], v[68:71]// 000000005484: D3F30044 1D122128
	buffer_load_dwordx4 a[68:71], v42, s[84:87], 0 offen offset:1024// 00000000548C: E05C1400 8095442A
	v_mfma_f32_16x16x32_fp8_fp8 v[68:71], a[42:43], a[18:19], v[68:71]// 000000005494: D3F30044 1D12252A
	v_mfma_f32_16x16x32_fp8_fp8 v[68:71], a[44:45], a[20:21], v[68:71]// 00000000549C: D3F30044 1D12292C
	ds_read_b128 a[8:11], v2 offset:8960                       // 0000000054A4: DBFE2300 08000002
	ds_read_b128 a[12:15], v2 offset:9024                      // 0000000054AC: DBFE2340 0C000002
	v_mfma_f32_16x16x32_fp8_fp8 v[68:71], a[46:47], a[22:23], v[68:71]// 0000000054B4: D3F30044 1D122D2E
	v_mfma_f32_16x16x32_fp8_fp8 v[64:67], a[32:33], a[24:25], v[64:67]// 0000000054BC: D3F30040 1D023120
	buffer_load_dwordx4 a[72:75], v43, s[84:87], 0 offen       // 0000000054C4: E05C1000 8095482B
	s_add_u32 s60, 0x180, s80                                  // 0000000054CC: 803C50FF 00000180
	s_cmp_lt_u32 s60, s81                                      // 0000000054D4: BF0A513C
	s_cselect_b32 s57, s57, 0                                  // 0000000054D8: 85398039
	v_mfma_f32_16x16x32_fp8_fp8 v[64:67], a[34:35], a[26:27], v[64:67]// 0000000054DC: D3F30040 1D023522
	s_add_u32 s60, 0x100, s80                                  // 0000000054E4: 803C50FF 00000100
	s_cmp_lt_u32 s60, s81                                      // 0000000054EC: BF0A513C
	s_cselect_b32 s58, s58, 0                                  // 0000000054F0: 853A803A
	v_mfma_f32_16x16x32_fp8_fp8 v[64:67], a[36:37], a[28:29], v[64:67]// 0000000054F4: D3F30040 1D023924
	s_add_u32 s60, 0x100, s80                                  // 0000000054FC: 803C50FF 00000100
	s_cmp_lt_u32 s60, s81                                      // 000000005504: BF0A513C
	s_cselect_b32 s83, s83, 0                                  // 000000005508: 85538053
	v_mfma_f32_16x16x32_fp8_fp8 v[64:67], a[38:39], a[30:31], v[64:67]// 00000000550C: D3F30040 1D023D26
	s_add_u32 s24, s58, s24                                    // 000000005514: 8018183A
	s_addc_u32 s25, 0, s25                                     // 000000005518: 82191980
	v_mfma_f32_16x16x32_fp8_fp8 v[72:75], a[40:41], a[24:25], v[72:75]// 00000000551C: D3F30048 1D223128
	buffer_load_dwordx4 a[76:79], v43, s[84:87], 0 offen offset:1024// 000000005524: E05C1400 80954C2B
	s_add_u32 s20, s57, s20                                    // 00000000552C: 80141439
	s_addc_u32 s21, 0, s21                                     // 000000005530: 82151580
	v_mfma_f32_16x16x32_fp8_fp8 v[72:75], a[42:43], a[26:27], v[72:75]// 000000005534: D3F30048 1D22352A
	s_add_u32 s84, s83, s84                                    // 00000000553C: 80545453
	s_addc_u32 s85, 0, s85                                     // 000000005540: 82555580
	v_mfma_f32_16x16x32_fp8_fp8 v[72:75], a[44:45], a[28:29], v[72:75]// 000000005544: D3F30048 1D22392C
	v_mfma_f32_16x16x32_fp8_fp8 v[72:75], a[46:47], a[30:31], v[72:75]// 00000000554C: D3F30048 1D223D2E
	s_addk_i32 s80, 0x80                                       // 000000005554: B7500080
	s_cmp_lt_i32 s80, s81                                      // 000000005558: BF045150
	s_cbranch_scc0 label_0CD8                                  // 00000000555C: BF8401FD
	s_waitcnt vmcnt(8) lgkmcnt(0)                              // 000000005560: BF8C0078
	v_mfma_f32_16x16x32_fp8_fp8 v[44:47], a[48:49], a[0:1], v[44:47]// 000000005564: D3F3002C 1CB20130
	buffer_load_dwordx4 a[32:35], v42, s[24:27], 0 offen       // 00000000556C: E05C1000 8086202A
	v_mfma_f32_16x16x32_fp8_fp8 v[44:47], a[50:51], a[2:3], v[44:47]// 000000005574: D3F3002C 1CB20532
	v_mfma_f32_16x16x32_fp8_fp8 v[44:47], a[52:53], a[4:5], v[44:47]// 00000000557C: D3F3002C 1CB20934
	v_mfma_f32_16x16x32_fp8_fp8 v[44:47], a[54:55], a[6:7], v[44:47]// 000000005584: D3F3002C 1CB20D36
	v_mfma_f32_16x16x32_fp8_fp8 v[52:55], a[56:57], a[0:1], v[52:55]// 00000000558C: D3F30034 1CD20138
	buffer_load_dwordx4 a[36:39], v42, s[24:27], 0 offen offset:1024// 000000005594: E05C1400 8086242A
	v_mfma_f32_16x16x32_fp8_fp8 v[52:55], a[58:59], a[2:3], v[52:55]// 00000000559C: D3F30034 1CD2053A
	v_mfma_f32_16x16x32_fp8_fp8 v[52:55], a[60:61], a[4:5], v[52:55]// 0000000055A4: D3F30034 1CD2093C
	v_mfma_f32_16x16x32_fp8_fp8 v[52:55], a[62:63], a[6:7], v[52:55]// 0000000055AC: D3F30034 1CD20D3E
	v_mfma_f32_16x16x32_fp8_fp8 v[48:51], a[48:49], a[8:9], v[48:51]// 0000000055B4: D3F30030 1CC21130
	buffer_load_dwordx4 a[40:43], v43, s[24:27], 0 offen       // 0000000055BC: E05C1000 8086282B
	v_mfma_f32_16x16x32_fp8_fp8 v[48:51], a[50:51], a[10:11], v[48:51]// 0000000055C4: D3F30030 1CC21532
	v_mfma_f32_16x16x32_fp8_fp8 v[48:51], a[52:53], a[12:13], v[48:51]// 0000000055CC: D3F30030 1CC21934
	v_mfma_f32_16x16x32_fp8_fp8 v[48:51], a[54:55], a[14:15], v[48:51]// 0000000055D4: D3F30030 1CC21D36
	v_mfma_f32_16x16x32_fp8_fp8 v[56:59], a[56:57], a[8:9], v[56:59]// 0000000055DC: D3F30038 1CE21138
	buffer_load_dwordx4 a[44:47], v43, s[24:27], 0 offen offset:1024// 0000000055E4: E05C1400 80862C2B
	buffer_load_dword v38, s[20:23], 0 offen lds               // 0000000055EC: E0511000 80050026
	s_add_u32 m0, 0x100, s49                                   // 0000000055F4: 807C31FF 00000100
	v_mfma_f32_16x16x32_fp8_fp8 v[56:59], a[58:59], a[10:11], v[56:59]// 0000000055FC: D3F30038 1CE2153A
	v_mfma_f32_16x16x32_fp8_fp8 v[56:59], a[60:61], a[12:13], v[56:59]// 000000005604: D3F30038 1CE2193C
	buffer_load_dword v39, s[20:23], 0 offen lds               // 00000000560C: E0511000 80050027
	s_add_u32 m0, 0x200, s49                                   // 000000005614: 807C31FF 00000200
	v_mfma_f32_16x16x32_fp8_fp8 v[56:59], a[62:63], a[14:15], v[56:59]// 00000000561C: D3F30038 1CE21D3E
	buffer_load_dword v40, s[20:23], 0 offen lds               // 000000005624: E0511000 80050028
	s_add_u32 m0, 0x300, s49                                   // 00000000562C: 807C31FF 00000300
	buffer_load_dword v41, s[20:23], 0 offen lds               // 000000005634: E0511000 80050029
	s_add_u32 m0, 0, s50                                       // 00000000563C: 807C3280
	s_waitcnt vmcnt(8)                                         // 000000005640: BF8C0F78
	s_barrier                                                  // 000000005644: BF8A0000
	v_mfma_f32_16x16x32_fp8_fp8 v[60:63], a[64:65], a[0:1], v[60:63]// 000000005648: D3F3003C 1CF20140
	buffer_load_dwordx4 a[48:51], v42, s[84:87], 0 offen       // 000000005650: E05C1000 8095302A
	v_mfma_f32_16x16x32_fp8_fp8 v[60:63], a[66:67], a[2:3], v[60:63]// 000000005658: D3F3003C 1CF20542
	v_mfma_f32_16x16x32_fp8_fp8 v[60:63], a[68:69], a[4:5], v[60:63]// 000000005660: D3F3003C 1CF20944
	ds_read_b128 a[16:19], v2                                  // 000000005668: DBFE0000 10000002
	ds_read_b128 a[20:23], v2 offset:64                        // 000000005670: DBFE0040 14000002
	v_mfma_f32_16x16x32_fp8_fp8 v[60:63], a[70:71], a[6:7], v[60:63]// 000000005678: D3F3003C 1CF20D46
	v_mfma_f32_16x16x32_fp8_fp8 v[68:71], a[72:73], a[0:1], v[68:71]// 000000005680: D3F30044 1D120148
	buffer_load_dwordx4 a[52:55], v42, s[84:87], 0 offen offset:1024// 000000005688: E05C1400 8095342A
	v_mfma_f32_16x16x32_fp8_fp8 v[68:71], a[74:75], a[2:3], v[68:71]// 000000005690: D3F30044 1D12054A
	v_mfma_f32_16x16x32_fp8_fp8 v[68:71], a[76:77], a[4:5], v[68:71]// 000000005698: D3F30044 1D12094C
	ds_read_b128 a[24:27], v2 offset:512                       // 0000000056A0: DBFE0200 18000002
	ds_read_b128 a[28:31], v2 offset:576                       // 0000000056A8: DBFE0240 1C000002
	v_mfma_f32_16x16x32_fp8_fp8 v[68:71], a[78:79], a[6:7], v[68:71]// 0000000056B0: D3F30044 1D120D4E
	v_mfma_f32_16x16x32_fp8_fp8 v[64:67], a[64:65], a[8:9], v[64:67]// 0000000056B8: D3F30040 1D021140
	buffer_load_dwordx4 a[56:59], v43, s[84:87], 0 offen       // 0000000056C0: E05C1000 8095382B
	s_add_u32 s60, 0x180, s80                                  // 0000000056C8: 803C50FF 00000180
	s_cmp_lt_u32 s60, s81                                      // 0000000056D0: BF0A513C
	s_cselect_b32 s57, s57, 0                                  // 0000000056D4: 85398039
	v_mfma_f32_16x16x32_fp8_fp8 v[64:67], a[66:67], a[10:11], v[64:67]// 0000000056D8: D3F30040 1D021542
	s_add_u32 s60, 0x100, s80                                  // 0000000056E0: 803C50FF 00000100
	s_cmp_lt_u32 s60, s81                                      // 0000000056E8: BF0A513C
	s_cselect_b32 s58, s58, 0                                  // 0000000056EC: 853A803A
	v_mfma_f32_16x16x32_fp8_fp8 v[64:67], a[68:69], a[12:13], v[64:67]// 0000000056F0: D3F30040 1D021944
	s_add_u32 s60, 0x100, s80                                  // 0000000056F8: 803C50FF 00000100
	s_cmp_lt_u32 s60, s81                                      // 000000005700: BF0A513C
	s_cselect_b32 s83, s83, 0                                  // 000000005704: 85538053
	v_mfma_f32_16x16x32_fp8_fp8 v[64:67], a[70:71], a[14:15], v[64:67]// 000000005708: D3F30040 1D021D46
	s_add_u32 s24, s58, s24                                    // 000000005710: 8018183A
	s_addc_u32 s25, 0, s25                                     // 000000005714: 82191980
	v_mfma_f32_16x16x32_fp8_fp8 v[72:75], a[72:73], a[8:9], v[72:75]// 000000005718: D3F30048 1D221148
	buffer_load_dwordx4 a[60:63], v43, s[84:87], 0 offen offset:1024// 000000005720: E05C1400 80953C2B
	s_add_u32 s20, s57, s20                                    // 000000005728: 80141439
	s_addc_u32 s21, 0, s21                                     // 00000000572C: 82151580
	v_mfma_f32_16x16x32_fp8_fp8 v[72:75], a[74:75], a[10:11], v[72:75]// 000000005730: D3F30048 1D22154A
	s_add_u32 s84, s83, s84                                    // 000000005738: 80545453
	s_addc_u32 s85, 0, s85                                     // 00000000573C: 82555580
	v_mfma_f32_16x16x32_fp8_fp8 v[72:75], a[76:77], a[12:13], v[72:75]// 000000005740: D3F30048 1D22194C
	v_mfma_f32_16x16x32_fp8_fp8 v[72:75], a[78:79], a[14:15], v[72:75]// 000000005748: D3F30048 1D221D4E
	s_addk_i32 s80, 0x80                                       // 000000005750: B7500080
	s_cmp_lt_i32 s80, s81                                      // 000000005754: BF045150
	s_cbranch_scc0 label_0CD8                                  // 000000005758: BF84017E
	s_waitcnt vmcnt(8) lgkmcnt(0)                              // 00000000575C: BF8C0078
	v_mfma_f32_16x16x32_fp8_fp8 v[44:47], a[32:33], a[16:17], v[44:47]// 000000005760: D3F3002C 1CB22120
	buffer_load_dwordx4 a[64:67], v42, s[24:27], 0 offen       // 000000005768: E05C1000 8086402A
	v_mfma_f32_16x16x32_fp8_fp8 v[44:47], a[34:35], a[18:19], v[44:47]// 000000005770: D3F3002C 1CB22522
	v_mfma_f32_16x16x32_fp8_fp8 v[44:47], a[36:37], a[20:21], v[44:47]// 000000005778: D3F3002C 1CB22924
	v_mfma_f32_16x16x32_fp8_fp8 v[44:47], a[38:39], a[22:23], v[44:47]// 000000005780: D3F3002C 1CB22D26
	v_mfma_f32_16x16x32_fp8_fp8 v[52:55], a[40:41], a[16:17], v[52:55]// 000000005788: D3F30034 1CD22128
	buffer_load_dwordx4 a[68:71], v42, s[24:27], 0 offen offset:1024// 000000005790: E05C1400 8086442A
	v_mfma_f32_16x16x32_fp8_fp8 v[52:55], a[42:43], a[18:19], v[52:55]// 000000005798: D3F30034 1CD2252A
	v_mfma_f32_16x16x32_fp8_fp8 v[52:55], a[44:45], a[20:21], v[52:55]// 0000000057A0: D3F30034 1CD2292C
	v_mfma_f32_16x16x32_fp8_fp8 v[52:55], a[46:47], a[22:23], v[52:55]// 0000000057A8: D3F30034 1CD22D2E
	v_mfma_f32_16x16x32_fp8_fp8 v[48:51], a[32:33], a[24:25], v[48:51]// 0000000057B0: D3F30030 1CC23120
	buffer_load_dwordx4 a[72:75], v43, s[24:27], 0 offen       // 0000000057B8: E05C1000 8086482B
	v_mfma_f32_16x16x32_fp8_fp8 v[48:51], a[34:35], a[26:27], v[48:51]// 0000000057C0: D3F30030 1CC23522
	v_mfma_f32_16x16x32_fp8_fp8 v[48:51], a[36:37], a[28:29], v[48:51]// 0000000057C8: D3F30030 1CC23924
	v_mfma_f32_16x16x32_fp8_fp8 v[48:51], a[38:39], a[30:31], v[48:51]// 0000000057D0: D3F30030 1CC23D26
	v_mfma_f32_16x16x32_fp8_fp8 v[56:59], a[40:41], a[24:25], v[56:59]// 0000000057D8: D3F30038 1CE23128
	buffer_load_dwordx4 a[76:79], v43, s[24:27], 0 offen offset:1024// 0000000057E0: E05C1400 80864C2B
	buffer_load_dword v38, s[20:23], 0 offen lds               // 0000000057E8: E0511000 80050026
	s_add_u32 m0, 0x100, s50                                   // 0000000057F0: 807C32FF 00000100
	v_mfma_f32_16x16x32_fp8_fp8 v[56:59], a[42:43], a[26:27], v[56:59]// 0000000057F8: D3F30038 1CE2352A
	v_mfma_f32_16x16x32_fp8_fp8 v[56:59], a[44:45], a[28:29], v[56:59]// 000000005800: D3F30038 1CE2392C
	buffer_load_dword v39, s[20:23], 0 offen lds               // 000000005808: E0511000 80050027
	s_add_u32 m0, 0x200, s50                                   // 000000005810: 807C32FF 00000200
	v_mfma_f32_16x16x32_fp8_fp8 v[56:59], a[46:47], a[30:31], v[56:59]// 000000005818: D3F30038 1CE23D2E
	buffer_load_dword v40, s[20:23], 0 offen lds               // 000000005820: E0511000 80050028
	s_add_u32 m0, 0x300, s50                                   // 000000005828: 807C32FF 00000300
	buffer_load_dword v41, s[20:23], 0 offen lds               // 000000005830: E0511000 80050029
	s_add_u32 m0, 0, s48                                       // 000000005838: 807C3080
	s_waitcnt vmcnt(8)                                         // 00000000583C: BF8C0F78
	s_barrier                                                  // 000000005840: BF8A0000
	v_mfma_f32_16x16x32_fp8_fp8 v[60:63], a[48:49], a[16:17], v[60:63]// 000000005844: D3F3003C 1CF22130
	buffer_load_dwordx4 a[32:35], v42, s[84:87], 0 offen       // 00000000584C: E05C1000 8095202A
	v_mfma_f32_16x16x32_fp8_fp8 v[60:63], a[50:51], a[18:19], v[60:63]// 000000005854: D3F3003C 1CF22532
	v_mfma_f32_16x16x32_fp8_fp8 v[60:63], a[52:53], a[20:21], v[60:63]// 00000000585C: D3F3003C 1CF22934
	ds_read_b128 a[0:3], v2 offset:4224                        // 000000005864: DBFE1080 00000002
	ds_read_b128 a[4:7], v2 offset:4288                        // 00000000586C: DBFE10C0 04000002
	v_mfma_f32_16x16x32_fp8_fp8 v[60:63], a[54:55], a[22:23], v[60:63]// 000000005874: D3F3003C 1CF22D36
	v_mfma_f32_16x16x32_fp8_fp8 v[68:71], a[56:57], a[16:17], v[68:71]// 00000000587C: D3F30044 1D122138
	buffer_load_dwordx4 a[36:39], v42, s[84:87], 0 offen offset:1024// 000000005884: E05C1400 8095242A
	v_mfma_f32_16x16x32_fp8_fp8 v[68:71], a[58:59], a[18:19], v[68:71]// 00000000588C: D3F30044 1D12253A
	v_mfma_f32_16x16x32_fp8_fp8 v[68:71], a[60:61], a[20:21], v[68:71]// 000000005894: D3F30044 1D12293C
	ds_read_b128 a[8:11], v2 offset:4736                       // 00000000589C: DBFE1280 08000002
	ds_read_b128 a[12:15], v2 offset:4800                      // 0000000058A4: DBFE12C0 0C000002
	v_mfma_f32_16x16x32_fp8_fp8 v[68:71], a[62:63], a[22:23], v[68:71]// 0000000058AC: D3F30044 1D122D3E
	v_mfma_f32_16x16x32_fp8_fp8 v[64:67], a[48:49], a[24:25], v[64:67]// 0000000058B4: D3F30040 1D023130
	buffer_load_dwordx4 a[40:43], v43, s[84:87], 0 offen       // 0000000058BC: E05C1000 8095282B
	s_add_u32 s60, 0x180, s80                                  // 0000000058C4: 803C50FF 00000180
	s_cmp_lt_u32 s60, s81                                      // 0000000058CC: BF0A513C
	s_cselect_b32 s57, s57, 0                                  // 0000000058D0: 85398039
	v_mfma_f32_16x16x32_fp8_fp8 v[64:67], a[50:51], a[26:27], v[64:67]// 0000000058D4: D3F30040 1D023532
	s_add_u32 s60, 0x100, s80                                  // 0000000058DC: 803C50FF 00000100
	s_cmp_lt_u32 s60, s81                                      // 0000000058E4: BF0A513C
	s_cselect_b32 s58, s58, 0                                  // 0000000058E8: 853A803A
	v_mfma_f32_16x16x32_fp8_fp8 v[64:67], a[52:53], a[28:29], v[64:67]// 0000000058EC: D3F30040 1D023934
	s_add_u32 s60, 0x100, s80                                  // 0000000058F4: 803C50FF 00000100
	s_cmp_lt_u32 s60, s81                                      // 0000000058FC: BF0A513C
	s_cselect_b32 s83, s83, 0                                  // 000000005900: 85538053
	v_mfma_f32_16x16x32_fp8_fp8 v[64:67], a[54:55], a[30:31], v[64:67]// 000000005904: D3F30040 1D023D36
	s_add_u32 s24, s58, s24                                    // 00000000590C: 8018183A
	s_addc_u32 s25, 0, s25                                     // 000000005910: 82191980
	v_mfma_f32_16x16x32_fp8_fp8 v[72:75], a[56:57], a[24:25], v[72:75]// 000000005914: D3F30048 1D223138
	buffer_load_dwordx4 a[44:47], v43, s[84:87], 0 offen offset:1024// 00000000591C: E05C1400 80952C2B
	s_add_u32 s20, s57, s20                                    // 000000005924: 80141439
	s_addc_u32 s21, 0, s21                                     // 000000005928: 82151580
	v_mfma_f32_16x16x32_fp8_fp8 v[72:75], a[58:59], a[26:27], v[72:75]// 00000000592C: D3F30048 1D22353A
	s_add_u32 s84, s83, s84                                    // 000000005934: 80545453
	s_addc_u32 s85, 0, s85                                     // 000000005938: 82555580
	v_mfma_f32_16x16x32_fp8_fp8 v[72:75], a[60:61], a[28:29], v[72:75]// 00000000593C: D3F30048 1D22393C
	v_mfma_f32_16x16x32_fp8_fp8 v[72:75], a[62:63], a[30:31], v[72:75]// 000000005944: D3F30048 1D223D3E
	s_addk_i32 s80, 0x80                                       // 00000000594C: B7500080
	s_cmp_lt_i32 s80, s81                                      // 000000005950: BF045150
	s_cbranch_scc0 label_0CD8                                  // 000000005954: BF8400FF
	s_waitcnt vmcnt(8) lgkmcnt(0)                              // 000000005958: BF8C0078
	v_mfma_f32_16x16x32_fp8_fp8 v[44:47], a[64:65], a[0:1], v[44:47]// 00000000595C: D3F3002C 1CB20140
	buffer_load_dwordx4 a[48:51], v42, s[24:27], 0 offen       // 000000005964: E05C1000 8086302A
	v_mfma_f32_16x16x32_fp8_fp8 v[44:47], a[66:67], a[2:3], v[44:47]// 00000000596C: D3F3002C 1CB20542
	v_mfma_f32_16x16x32_fp8_fp8 v[44:47], a[68:69], a[4:5], v[44:47]// 000000005974: D3F3002C 1CB20944
	v_mfma_f32_16x16x32_fp8_fp8 v[44:47], a[70:71], a[6:7], v[44:47]// 00000000597C: D3F3002C 1CB20D46
	v_mfma_f32_16x16x32_fp8_fp8 v[52:55], a[72:73], a[0:1], v[52:55]// 000000005984: D3F30034 1CD20148
	buffer_load_dwordx4 a[52:55], v42, s[24:27], 0 offen offset:1024// 00000000598C: E05C1400 8086342A
	v_mfma_f32_16x16x32_fp8_fp8 v[52:55], a[74:75], a[2:3], v[52:55]// 000000005994: D3F30034 1CD2054A
	v_mfma_f32_16x16x32_fp8_fp8 v[52:55], a[76:77], a[4:5], v[52:55]// 00000000599C: D3F30034 1CD2094C
	v_mfma_f32_16x16x32_fp8_fp8 v[52:55], a[78:79], a[6:7], v[52:55]// 0000000059A4: D3F30034 1CD20D4E
	v_mfma_f32_16x16x32_fp8_fp8 v[48:51], a[64:65], a[8:9], v[48:51]// 0000000059AC: D3F30030 1CC21140
	buffer_load_dwordx4 a[56:59], v43, s[24:27], 0 offen       // 0000000059B4: E05C1000 8086382B
	v_mfma_f32_16x16x32_fp8_fp8 v[48:51], a[66:67], a[10:11], v[48:51]// 0000000059BC: D3F30030 1CC21542
	v_mfma_f32_16x16x32_fp8_fp8 v[48:51], a[68:69], a[12:13], v[48:51]// 0000000059C4: D3F30030 1CC21944
	v_mfma_f32_16x16x32_fp8_fp8 v[48:51], a[70:71], a[14:15], v[48:51]// 0000000059CC: D3F30030 1CC21D46
	v_mfma_f32_16x16x32_fp8_fp8 v[56:59], a[72:73], a[8:9], v[56:59]// 0000000059D4: D3F30038 1CE21148
	buffer_load_dwordx4 a[60:63], v43, s[24:27], 0 offen offset:1024// 0000000059DC: E05C1400 80863C2B
	buffer_load_dword v38, s[20:23], 0 offen lds               // 0000000059E4: E0511000 80050026
	s_add_u32 m0, 0x100, s48                                   // 0000000059EC: 807C30FF 00000100
	v_mfma_f32_16x16x32_fp8_fp8 v[56:59], a[74:75], a[10:11], v[56:59]// 0000000059F4: D3F30038 1CE2154A
	v_mfma_f32_16x16x32_fp8_fp8 v[56:59], a[76:77], a[12:13], v[56:59]// 0000000059FC: D3F30038 1CE2194C
	buffer_load_dword v39, s[20:23], 0 offen lds               // 000000005A04: E0511000 80050027
	s_add_u32 m0, 0x200, s48                                   // 000000005A0C: 807C30FF 00000200
	v_mfma_f32_16x16x32_fp8_fp8 v[56:59], a[78:79], a[14:15], v[56:59]// 000000005A14: D3F30038 1CE21D4E
	buffer_load_dword v40, s[20:23], 0 offen lds               // 000000005A1C: E0511000 80050028
	s_add_u32 m0, 0x300, s48                                   // 000000005A24: 807C30FF 00000300
	buffer_load_dword v41, s[20:23], 0 offen lds               // 000000005A2C: E0511000 80050029
	s_add_u32 m0, 0, s49                                       // 000000005A34: 807C3180
	s_waitcnt vmcnt(8)                                         // 000000005A38: BF8C0F78
	s_barrier                                                  // 000000005A3C: BF8A0000
	v_mfma_f32_16x16x32_fp8_fp8 v[60:63], a[32:33], a[0:1], v[60:63]// 000000005A40: D3F3003C 1CF20120
	buffer_load_dwordx4 a[64:67], v42, s[84:87], 0 offen       // 000000005A48: E05C1000 8095402A
	v_mfma_f32_16x16x32_fp8_fp8 v[60:63], a[34:35], a[2:3], v[60:63]// 000000005A50: D3F3003C 1CF20522
	v_mfma_f32_16x16x32_fp8_fp8 v[60:63], a[36:37], a[4:5], v[60:63]// 000000005A58: D3F3003C 1CF20924
	ds_read_b128 a[16:19], v2 offset:8448                      // 000000005A60: DBFE2100 10000002
	ds_read_b128 a[20:23], v2 offset:8512                      // 000000005A68: DBFE2140 14000002
	v_mfma_f32_16x16x32_fp8_fp8 v[60:63], a[38:39], a[6:7], v[60:63]// 000000005A70: D3F3003C 1CF20D26
	v_mfma_f32_16x16x32_fp8_fp8 v[68:71], a[40:41], a[0:1], v[68:71]// 000000005A78: D3F30044 1D120128
	buffer_load_dwordx4 a[68:71], v42, s[84:87], 0 offen offset:1024// 000000005A80: E05C1400 8095442A
	v_mfma_f32_16x16x32_fp8_fp8 v[68:71], a[42:43], a[2:3], v[68:71]// 000000005A88: D3F30044 1D12052A
	v_mfma_f32_16x16x32_fp8_fp8 v[68:71], a[44:45], a[4:5], v[68:71]// 000000005A90: D3F30044 1D12092C
	ds_read_b128 a[24:27], v2 offset:8960                      // 000000005A98: DBFE2300 18000002
	ds_read_b128 a[28:31], v2 offset:9024                      // 000000005AA0: DBFE2340 1C000002
	v_mfma_f32_16x16x32_fp8_fp8 v[68:71], a[46:47], a[6:7], v[68:71]// 000000005AA8: D3F30044 1D120D2E
	v_mfma_f32_16x16x32_fp8_fp8 v[64:67], a[32:33], a[8:9], v[64:67]// 000000005AB0: D3F30040 1D021120
	buffer_load_dwordx4 a[72:75], v43, s[84:87], 0 offen       // 000000005AB8: E05C1000 8095482B
	s_add_u32 s60, 0x180, s80                                  // 000000005AC0: 803C50FF 00000180
	s_cmp_lt_u32 s60, s81                                      // 000000005AC8: BF0A513C
	s_cselect_b32 s57, s57, 0                                  // 000000005ACC: 85398039
	v_mfma_f32_16x16x32_fp8_fp8 v[64:67], a[34:35], a[10:11], v[64:67]// 000000005AD0: D3F30040 1D021522
	s_add_u32 s60, 0x100, s80                                  // 000000005AD8: 803C50FF 00000100
	s_cmp_lt_u32 s60, s81                                      // 000000005AE0: BF0A513C
	s_cselect_b32 s58, s58, 0                                  // 000000005AE4: 853A803A
	v_mfma_f32_16x16x32_fp8_fp8 v[64:67], a[36:37], a[12:13], v[64:67]// 000000005AE8: D3F30040 1D021924
	s_add_u32 s60, 0x100, s80                                  // 000000005AF0: 803C50FF 00000100
	s_cmp_lt_u32 s60, s81                                      // 000000005AF8: BF0A513C
	s_cselect_b32 s83, s83, 0                                  // 000000005AFC: 85538053
	v_mfma_f32_16x16x32_fp8_fp8 v[64:67], a[38:39], a[14:15], v[64:67]// 000000005B00: D3F30040 1D021D26
	s_add_u32 s24, s58, s24                                    // 000000005B08: 8018183A
	s_addc_u32 s25, 0, s25                                     // 000000005B0C: 82191980
	v_mfma_f32_16x16x32_fp8_fp8 v[72:75], a[40:41], a[8:9], v[72:75]// 000000005B10: D3F30048 1D221128
	buffer_load_dwordx4 a[76:79], v43, s[84:87], 0 offen offset:1024// 000000005B18: E05C1400 80954C2B
	s_add_u32 s20, s57, s20                                    // 000000005B20: 80141439
	s_addc_u32 s21, 0, s21                                     // 000000005B24: 82151580
	v_mfma_f32_16x16x32_fp8_fp8 v[72:75], a[42:43], a[10:11], v[72:75]// 000000005B28: D3F30048 1D22152A
	s_add_u32 s84, s83, s84                                    // 000000005B30: 80545453
	s_addc_u32 s85, 0, s85                                     // 000000005B34: 82555580
	v_mfma_f32_16x16x32_fp8_fp8 v[72:75], a[44:45], a[12:13], v[72:75]// 000000005B38: D3F30048 1D22192C
	v_mfma_f32_16x16x32_fp8_fp8 v[72:75], a[46:47], a[14:15], v[72:75]// 000000005B40: D3F30048 1D221D2E
	s_addk_i32 s80, 0x80                                       // 000000005B48: B7500080
	s_cmp_lt_i32 s80, s81                                      // 000000005B4C: BF045150
	s_cbranch_scc0 label_0CD8                                  // 000000005B50: BF840080
	s_waitcnt vmcnt(8) lgkmcnt(0)                              // 000000005B54: BF8C0078
	v_mfma_f32_16x16x32_fp8_fp8 v[44:47], a[48:49], a[16:17], v[44:47]// 000000005B58: D3F3002C 1CB22130
	buffer_load_dwordx4 a[32:35], v42, s[24:27], 0 offen       // 000000005B60: E05C1000 8086202A
	v_mfma_f32_16x16x32_fp8_fp8 v[44:47], a[50:51], a[18:19], v[44:47]// 000000005B68: D3F3002C 1CB22532
	v_mfma_f32_16x16x32_fp8_fp8 v[44:47], a[52:53], a[20:21], v[44:47]// 000000005B70: D3F3002C 1CB22934
	v_mfma_f32_16x16x32_fp8_fp8 v[44:47], a[54:55], a[22:23], v[44:47]// 000000005B78: D3F3002C 1CB22D36
	v_mfma_f32_16x16x32_fp8_fp8 v[52:55], a[56:57], a[16:17], v[52:55]// 000000005B80: D3F30034 1CD22138
	buffer_load_dwordx4 a[36:39], v42, s[24:27], 0 offen offset:1024// 000000005B88: E05C1400 8086242A
	v_mfma_f32_16x16x32_fp8_fp8 v[52:55], a[58:59], a[18:19], v[52:55]// 000000005B90: D3F30034 1CD2253A
	v_mfma_f32_16x16x32_fp8_fp8 v[52:55], a[60:61], a[20:21], v[52:55]// 000000005B98: D3F30034 1CD2293C
	v_mfma_f32_16x16x32_fp8_fp8 v[52:55], a[62:63], a[22:23], v[52:55]// 000000005BA0: D3F30034 1CD22D3E
	v_mfma_f32_16x16x32_fp8_fp8 v[48:51], a[48:49], a[24:25], v[48:51]// 000000005BA8: D3F30030 1CC23130
	buffer_load_dwordx4 a[40:43], v43, s[24:27], 0 offen       // 000000005BB0: E05C1000 8086282B
	v_mfma_f32_16x16x32_fp8_fp8 v[48:51], a[50:51], a[26:27], v[48:51]// 000000005BB8: D3F30030 1CC23532
	v_mfma_f32_16x16x32_fp8_fp8 v[48:51], a[52:53], a[28:29], v[48:51]// 000000005BC0: D3F30030 1CC23934
	v_mfma_f32_16x16x32_fp8_fp8 v[48:51], a[54:55], a[30:31], v[48:51]// 000000005BC8: D3F30030 1CC23D36
	v_mfma_f32_16x16x32_fp8_fp8 v[56:59], a[56:57], a[24:25], v[56:59]// 000000005BD0: D3F30038 1CE23138
	buffer_load_dwordx4 a[44:47], v43, s[24:27], 0 offen offset:1024// 000000005BD8: E05C1400 80862C2B
	buffer_load_dword v38, s[20:23], 0 offen lds               // 000000005BE0: E0511000 80050026
	s_add_u32 m0, 0x100, s49                                   // 000000005BE8: 807C31FF 00000100
	v_mfma_f32_16x16x32_fp8_fp8 v[56:59], a[58:59], a[26:27], v[56:59]// 000000005BF0: D3F30038 1CE2353A
	v_mfma_f32_16x16x32_fp8_fp8 v[56:59], a[60:61], a[28:29], v[56:59]// 000000005BF8: D3F30038 1CE2393C
	buffer_load_dword v39, s[20:23], 0 offen lds               // 000000005C00: E0511000 80050027
	s_add_u32 m0, 0x200, s49                                   // 000000005C08: 807C31FF 00000200
	v_mfma_f32_16x16x32_fp8_fp8 v[56:59], a[62:63], a[30:31], v[56:59]// 000000005C10: D3F30038 1CE23D3E
	buffer_load_dword v40, s[20:23], 0 offen lds               // 000000005C18: E0511000 80050028
	s_add_u32 m0, 0x300, s49                                   // 000000005C20: 807C31FF 00000300
	buffer_load_dword v41, s[20:23], 0 offen lds               // 000000005C28: E0511000 80050029
	s_add_u32 m0, 0, s50                                       // 000000005C30: 807C3280
	s_waitcnt vmcnt(8)                                         // 000000005C34: BF8C0F78
	s_barrier                                                  // 000000005C38: BF8A0000
	v_mfma_f32_16x16x32_fp8_fp8 v[60:63], a[64:65], a[16:17], v[60:63]// 000000005C3C: D3F3003C 1CF22140
	buffer_load_dwordx4 a[48:51], v42, s[84:87], 0 offen       // 000000005C44: E05C1000 8095302A
	v_mfma_f32_16x16x32_fp8_fp8 v[60:63], a[66:67], a[18:19], v[60:63]// 000000005C4C: D3F3003C 1CF22542
	v_mfma_f32_16x16x32_fp8_fp8 v[60:63], a[68:69], a[20:21], v[60:63]// 000000005C54: D3F3003C 1CF22944
	ds_read_b128 a[0:3], v2                                    // 000000005C5C: DBFE0000 00000002
	ds_read_b128 a[4:7], v2 offset:64                          // 000000005C64: DBFE0040 04000002
	v_mfma_f32_16x16x32_fp8_fp8 v[60:63], a[70:71], a[22:23], v[60:63]// 000000005C6C: D3F3003C 1CF22D46
	v_mfma_f32_16x16x32_fp8_fp8 v[68:71], a[72:73], a[16:17], v[68:71]// 000000005C74: D3F30044 1D122148
	buffer_load_dwordx4 a[52:55], v42, s[84:87], 0 offen offset:1024// 000000005C7C: E05C1400 8095342A
	v_mfma_f32_16x16x32_fp8_fp8 v[68:71], a[74:75], a[18:19], v[68:71]// 000000005C84: D3F30044 1D12254A
	v_mfma_f32_16x16x32_fp8_fp8 v[68:71], a[76:77], a[20:21], v[68:71]// 000000005C8C: D3F30044 1D12294C
	ds_read_b128 a[8:11], v2 offset:512                        // 000000005C94: DBFE0200 08000002
	ds_read_b128 a[12:15], v2 offset:576                       // 000000005C9C: DBFE0240 0C000002
	v_mfma_f32_16x16x32_fp8_fp8 v[68:71], a[78:79], a[22:23], v[68:71]// 000000005CA4: D3F30044 1D122D4E
	v_mfma_f32_16x16x32_fp8_fp8 v[64:67], a[64:65], a[24:25], v[64:67]// 000000005CAC: D3F30040 1D023140
	buffer_load_dwordx4 a[56:59], v43, s[84:87], 0 offen       // 000000005CB4: E05C1000 8095382B
	s_add_u32 s60, 0x180, s80                                  // 000000005CBC: 803C50FF 00000180
	s_cmp_lt_u32 s60, s81                                      // 000000005CC4: BF0A513C
	s_cselect_b32 s57, s57, 0                                  // 000000005CC8: 85398039
	v_mfma_f32_16x16x32_fp8_fp8 v[64:67], a[66:67], a[26:27], v[64:67]// 000000005CCC: D3F30040 1D023542
	s_add_u32 s60, 0x100, s80                                  // 000000005CD4: 803C50FF 00000100
	s_cmp_lt_u32 s60, s81                                      // 000000005CDC: BF0A513C
	s_cselect_b32 s58, s58, 0                                  // 000000005CE0: 853A803A
	v_mfma_f32_16x16x32_fp8_fp8 v[64:67], a[68:69], a[28:29], v[64:67]// 000000005CE4: D3F30040 1D023944
	s_add_u32 s60, 0x100, s80                                  // 000000005CEC: 803C50FF 00000100
	s_cmp_lt_u32 s60, s81                                      // 000000005CF4: BF0A513C
	s_cselect_b32 s83, s83, 0                                  // 000000005CF8: 85538053
	v_mfma_f32_16x16x32_fp8_fp8 v[64:67], a[70:71], a[30:31], v[64:67]// 000000005CFC: D3F30040 1D023D46
	s_add_u32 s24, s58, s24                                    // 000000005D04: 8018183A
	s_addc_u32 s25, 0, s25                                     // 000000005D08: 82191980
	v_mfma_f32_16x16x32_fp8_fp8 v[72:75], a[72:73], a[24:25], v[72:75]// 000000005D0C: D3F30048 1D223148
	buffer_load_dwordx4 a[60:63], v43, s[84:87], 0 offen offset:1024// 000000005D14: E05C1400 80953C2B
	s_add_u32 s20, s57, s20                                    // 000000005D1C: 80141439
	s_addc_u32 s21, 0, s21                                     // 000000005D20: 82151580
	v_mfma_f32_16x16x32_fp8_fp8 v[72:75], a[74:75], a[26:27], v[72:75]// 000000005D24: D3F30048 1D22354A
	s_add_u32 s84, s83, s84                                    // 000000005D2C: 80545453
	s_addc_u32 s85, 0, s85                                     // 000000005D30: 82555580
	v_mfma_f32_16x16x32_fp8_fp8 v[72:75], a[76:77], a[28:29], v[72:75]// 000000005D34: D3F30048 1D22394C
	v_mfma_f32_16x16x32_fp8_fp8 v[72:75], a[78:79], a[30:31], v[72:75]// 000000005D3C: D3F30048 1D223D4E
	s_addk_i32 s80, 0x80                                       // 000000005D44: B7500080
	s_cmp_lt_i32 s80, s81                                      // 000000005D48: BF045150
	s_cbranch_scc0 label_0CD8                                  // 000000005D4C: BF840001
	s_branch label_09DD                                        // 000000005D50: BF82FD05

0000000000005d54 <label_0CD8>:
	v_mul_f32_dpp v44, v24, v44 row_newbcast:0 row_mask:0xf bank_mask:0xf// 000000005D54: 0A5858FA FF015018
	v_mul_f32_dpp v45, v24, v45 row_newbcast:1 row_mask:0xf bank_mask:0xf// 000000005D5C: 0A5A5AFA FF015118
	v_mul_f32_dpp v46, v24, v46 row_newbcast:2 row_mask:0xf bank_mask:0xf// 000000005D64: 0A5C5CFA FF015218
	v_mul_f32_dpp v47, v24, v47 row_newbcast:3 row_mask:0xf bank_mask:0xf// 000000005D6C: 0A5E5EFA FF015318
	v_mul_f32_dpp v48, v24, v48 row_newbcast:0 row_mask:0xf bank_mask:0xf// 000000005D74: 0A6060FA FF015018
	v_mul_f32_dpp v49, v24, v49 row_newbcast:1 row_mask:0xf bank_mask:0xf// 000000005D7C: 0A6262FA FF015118
	v_mul_f32_dpp v50, v24, v50 row_newbcast:2 row_mask:0xf bank_mask:0xf// 000000005D84: 0A6464FA FF015218
	v_mul_f32_dpp v51, v24, v51 row_newbcast:3 row_mask:0xf bank_mask:0xf// 000000005D8C: 0A6666FA FF015318
	v_mul_f32_dpp v52, v24, v52 row_newbcast:4 row_mask:0xf bank_mask:0xf// 000000005D94: 0A6868FA FF015418
	v_mul_f32_dpp v53, v24, v53 row_newbcast:5 row_mask:0xf bank_mask:0xf// 000000005D9C: 0A6A6AFA FF015518
	v_mul_f32_dpp v54, v24, v54 row_newbcast:6 row_mask:0xf bank_mask:0xf// 000000005DA4: 0A6C6CFA FF015618
	v_mul_f32_dpp v55, v24, v55 row_newbcast:7 row_mask:0xf bank_mask:0xf// 000000005DAC: 0A6E6EFA FF015718
	v_mul_f32_dpp v56, v24, v56 row_newbcast:4 row_mask:0xf bank_mask:0xf// 000000005DB4: 0A7070FA FF015418
	v_mul_f32_dpp v57, v24, v57 row_newbcast:5 row_mask:0xf bank_mask:0xf// 000000005DBC: 0A7272FA FF015518
	v_mul_f32_dpp v58, v24, v58 row_newbcast:6 row_mask:0xf bank_mask:0xf// 000000005DC4: 0A7474FA FF015618
	v_mul_f32_dpp v59, v24, v59 row_newbcast:7 row_mask:0xf bank_mask:0xf// 000000005DCC: 0A7676FA FF015718
	v_mul_f32_dpp v60, v27, v60 row_newbcast:0 row_mask:0xf bank_mask:0xf// 000000005DD4: 0A7878FA FF01501B
	v_mul_f32_dpp v61, v27, v61 row_newbcast:1 row_mask:0xf bank_mask:0xf// 000000005DDC: 0A7A7AFA FF01511B
	v_mul_f32_dpp v62, v27, v62 row_newbcast:2 row_mask:0xf bank_mask:0xf// 000000005DE4: 0A7C7CFA FF01521B
	v_mul_f32_dpp v63, v27, v63 row_newbcast:3 row_mask:0xf bank_mask:0xf// 000000005DEC: 0A7E7EFA FF01531B
	v_mul_f32_dpp v64, v27, v64 row_newbcast:0 row_mask:0xf bank_mask:0xf// 000000005DF4: 0A8080FA FF01501B
	v_mul_f32_dpp v65, v27, v65 row_newbcast:1 row_mask:0xf bank_mask:0xf// 000000005DFC: 0A8282FA FF01511B
	v_mul_f32_dpp v66, v27, v66 row_newbcast:2 row_mask:0xf bank_mask:0xf// 000000005E04: 0A8484FA FF01521B
	v_mul_f32_dpp v67, v27, v67 row_newbcast:3 row_mask:0xf bank_mask:0xf// 000000005E0C: 0A8686FA FF01531B
	v_mul_f32_dpp v68, v27, v68 row_newbcast:4 row_mask:0xf bank_mask:0xf// 000000005E14: 0A8888FA FF01541B
	v_mul_f32_dpp v69, v27, v69 row_newbcast:5 row_mask:0xf bank_mask:0xf// 000000005E1C: 0A8A8AFA FF01551B
	v_mul_f32_dpp v70, v27, v70 row_newbcast:6 row_mask:0xf bank_mask:0xf// 000000005E24: 0A8C8CFA FF01561B
	v_mul_f32_dpp v71, v27, v71 row_newbcast:7 row_mask:0xf bank_mask:0xf// 000000005E2C: 0A8E8EFA FF01571B
	v_mul_f32_dpp v72, v27, v72 row_newbcast:4 row_mask:0xf bank_mask:0xf// 000000005E34: 0A9090FA FF01541B
	v_mul_f32_dpp v73, v27, v73 row_newbcast:5 row_mask:0xf bank_mask:0xf// 000000005E3C: 0A9292FA FF01551B
	v_mul_f32_dpp v74, v27, v74 row_newbcast:6 row_mask:0xf bank_mask:0xf// 000000005E44: 0A9494FA FF01561B
	v_mul_f32_dpp v75, v27, v75 row_newbcast:7 row_mask:0xf bank_mask:0xf// 000000005E4C: 0A9696FA FF01571B
	v_mul_f32_e32 v32, v32, v76                                // 000000005E54: 0A409920
	v_mov_b32_e32 v4, v32                                      // 000000005E58: 7E080320
	v_mov_b32_e32 v5, v4                                       // 000000005E5C: 7E0A0304
	v_pk_mul_f32 v[44:45], v[4:5], v[44:45]                    // 000000005E60: D3B1402C 18025904
	v_pk_mul_f32 v[60:61], v[4:5], v[60:61]                    // 000000005E68: D3B1403C 18027904
	v_pk_mul_f32 v[46:47], v[4:5], v[46:47]                    // 000000005E70: D3B1402E 18025D04
	v_pk_mul_f32 v[62:63], v[4:5], v[62:63]                    // 000000005E78: D3B1403E 18027D04
	v_pk_mul_f32 v[52:53], v[4:5], v[52:53]                    // 000000005E80: D3B14034 18026904
	v_pk_mul_f32 v[68:69], v[4:5], v[68:69]                    // 000000005E88: D3B14044 18028904
	v_pk_mul_f32 v[54:55], v[4:5], v[54:55]                    // 000000005E90: D3B14036 18026D04
	v_pk_mul_f32 v[70:71], v[4:5], v[70:71]                    // 000000005E98: D3B14046 18028D04
	v_mul_f32_e32 v33, v33, v77                                // 000000005EA0: 0A429B21
	v_mov_b32_e32 v4, v33                                      // 000000005EA4: 7E080321
	v_mov_b32_e32 v5, v4                                       // 000000005EA8: 7E0A0304
	v_pk_mul_f32 v[48:49], v[4:5], v[48:49]                    // 000000005EAC: D3B14030 18026104
	v_pk_mul_f32 v[64:65], v[4:5], v[64:65]                    // 000000005EB4: D3B14040 18028104
	v_pk_mul_f32 v[50:51], v[4:5], v[50:51]                    // 000000005EBC: D3B14032 18026504
	v_pk_mul_f32 v[66:67], v[4:5], v[66:67]                    // 000000005EC4: D3B14042 18028504
	v_pk_mul_f32 v[56:57], v[4:5], v[56:57]                    // 000000005ECC: D3B14038 18027104
	v_pk_mul_f32 v[72:73], v[4:5], v[72:73]                    // 000000005ED4: D3B14048 18029104
	v_pk_mul_f32 v[58:59], v[4:5], v[58:59]                    // 000000005EDC: D3B1403A 18027504
	v_pk_mul_f32 v[74:75], v[4:5], v[74:75]                    // 000000005EE4: D3B1404A 18029504
	s_cmp_eq_u32 s88, 0                                        // 000000005EEC: BF068058
	s_cbranch_scc0 label_0FB1                                  // 000000005EF0: BF840271
	s_cmp_eq_u32 s89, 0                                        // 000000005EF4: BF068059
	s_cbranch_scc1 label_0DE7                                  // 000000005EF8: BF8500A5
	v_mov_b32_e32 v8, v1                                       // 000000005EFC: 7E100301
	v_mov_b32_e32 v9, v1                                       // 000000005F00: 7E120301
	s_mov_b32 s60, s6                                          // 000000005F04: BEBC0006
	s_mov_b32 s61, s6                                          // 000000005F08: BEBD0006
	v_pk_mul_f32 v[4:5], v[44:45], v[44:45]                    // 000000005F0C: D3B14004 1802592C
	v_pk_mul_f32 v[6:7], v[46:47], v[46:47]                    // 000000005F14: D3B14006 18025D2E
	v_pk_fma_f32 v[4:5], v[4:5], s[78:79], v[8:9]              // 000000005F1C: D3B04004 1C209D04
	v_pk_fma_f32 v[6:7], v[6:7], s[78:79], v[8:9]              // 000000005F24: D3B04006 1C209D06
	v_pk_mul_f32 v[4:5], v[4:5], v[44:45]                      // 000000005F2C: D3B14004 18025904
	v_pk_mul_f32 v[6:7], v[6:7], v[46:47]                      // 000000005F34: D3B14006 18025D06
	v_pk_mul_f32 v[4:5], v[4:5], s[60:61]                      // 000000005F3C: D3B14004 18007904
	v_pk_mul_f32 v[6:7], v[6:7], s[60:61]                      // 000000005F44: D3B14006 18007906
	v_exp_f32_e32 v4, v4                                       // 000000005F4C: 7E084104
	v_exp_f32_e32 v5, v5                                       // 000000005F50: 7E0A4105
	v_exp_f32_e32 v6, v6                                       // 000000005F54: 7E0C4106
	v_exp_f32_e32 v7, v7                                       // 000000005F58: 7E0E4107
	v_add_f32_e64 v4, v4, 1.0                                  // 000000005F5C: D1010004 0001E504
	v_add_f32_e64 v5, v5, 1.0                                  // 000000005F64: D1010005 0001E505
	v_add_f32_e64 v6, v6, 1.0                                  // 000000005F6C: D1010006 0001E506
	v_add_f32_e64 v7, v7, 1.0                                  // 000000005F74: D1010007 0001E507
	v_rcp_f32_e32 v4, v4                                       // 000000005F7C: 7E084504
	v_rcp_f32_e32 v5, v5                                       // 000000005F80: 7E0A4505
	v_rcp_f32_e32 v6, v6                                       // 000000005F84: 7E0C4506
	v_rcp_f32_e32 v7, v7                                       // 000000005F88: 7E0E4507
	v_mul_f32_e32 v44, v44, v4                                 // 000000005F8C: 0A58092C
	v_mul_f32_e32 v45, v45, v5                                 // 000000005F90: 0A5A0B2D
	v_mul_f32_e32 v46, v46, v6                                 // 000000005F94: 0A5C0D2E
	v_mul_f32_e32 v47, v47, v7                                 // 000000005F98: 0A5E0F2F
	v_mul_f32_e32 v44, v44, v60                                // 000000005F9C: 0A58792C
	v_mul_f32_e32 v45, v45, v61                                // 000000005FA0: 0A5A7B2D
	v_mul_f32_e32 v46, v46, v62                                // 000000005FA4: 0A5C7D2E
	v_mul_f32_e32 v47, v47, v63                                // 000000005FA8: 0A5E7F2F
	v_pk_mul_f32 v[4:5], v[48:49], v[48:49]                    // 000000005FAC: D3B14004 18026130
	v_pk_mul_f32 v[6:7], v[50:51], v[50:51]                    // 000000005FB4: D3B14006 18026532
	v_pk_fma_f32 v[4:5], v[4:5], s[78:79], v[8:9]              // 000000005FBC: D3B04004 1C209D04
	v_pk_fma_f32 v[6:7], v[6:7], s[78:79], v[8:9]              // 000000005FC4: D3B04006 1C209D06
	v_pk_mul_f32 v[4:5], v[4:5], v[48:49]                      // 000000005FCC: D3B14004 18026104
	v_pk_mul_f32 v[6:7], v[6:7], v[50:51]                      // 000000005FD4: D3B14006 18026506
	v_pk_mul_f32 v[4:5], v[4:5], s[60:61]                      // 000000005FDC: D3B14004 18007904
	v_pk_mul_f32 v[6:7], v[6:7], s[60:61]                      // 000000005FE4: D3B14006 18007906
	v_exp_f32_e32 v4, v4                                       // 000000005FEC: 7E084104
	v_exp_f32_e32 v5, v5                                       // 000000005FF0: 7E0A4105
	v_exp_f32_e32 v6, v6                                       // 000000005FF4: 7E0C4106
	v_exp_f32_e32 v7, v7                                       // 000000005FF8: 7E0E4107
	v_add_f32_e64 v4, v4, 1.0                                  // 000000005FFC: D1010004 0001E504
	v_add_f32_e64 v5, v5, 1.0                                  // 000000006004: D1010005 0001E505
	v_add_f32_e64 v6, v6, 1.0                                  // 00000000600C: D1010006 0001E506
	v_add_f32_e64 v7, v7, 1.0                                  // 000000006014: D1010007 0001E507
	v_rcp_f32_e32 v4, v4                                       // 00000000601C: 7E084504
	v_rcp_f32_e32 v5, v5                                       // 000000006020: 7E0A4505
	v_rcp_f32_e32 v6, v6                                       // 000000006024: 7E0C4506
	v_rcp_f32_e32 v7, v7                                       // 000000006028: 7E0E4507
	v_mul_f32_e32 v48, v48, v4                                 // 00000000602C: 0A600930
	v_mul_f32_e32 v49, v49, v5                                 // 000000006030: 0A620B31
	v_mul_f32_e32 v50, v50, v6                                 // 000000006034: 0A640D32
	v_mul_f32_e32 v51, v51, v7                                 // 000000006038: 0A660F33
	v_mul_f32_e32 v48, v48, v64                                // 00000000603C: 0A608130
	v_mul_f32_e32 v49, v49, v65                                // 000000006040: 0A628331
	v_mul_f32_e32 v50, v50, v66                                // 000000006044: 0A648532
	v_mul_f32_e32 v51, v51, v67                                // 000000006048: 0A668733
	v_pk_mul_f32 v[4:5], v[52:53], v[52:53]                    // 00000000604C: D3B14004 18026934
	v_pk_mul_f32 v[6:7], v[54:55], v[54:55]                    // 000000006054: D3B14006 18026D36
	v_pk_fma_f32 v[4:5], v[4:5], s[78:79], v[8:9]              // 00000000605C: D3B04004 1C209D04
	v_pk_fma_f32 v[6:7], v[6:7], s[78:79], v[8:9]              // 000000006064: D3B04006 1C209D06
	v_pk_mul_f32 v[4:5], v[4:5], v[52:53]                      // 00000000606C: D3B14004 18026904
	v_pk_mul_f32 v[6:7], v[6:7], v[54:55]                      // 000000006074: D3B14006 18026D06
	v_pk_mul_f32 v[4:5], v[4:5], s[60:61]                      // 00000000607C: D3B14004 18007904
	v_pk_mul_f32 v[6:7], v[6:7], s[60:61]                      // 000000006084: D3B14006 18007906
	v_exp_f32_e32 v4, v4                                       // 00000000608C: 7E084104
	v_exp_f32_e32 v5, v5                                       // 000000006090: 7E0A4105
	v_exp_f32_e32 v6, v6                                       // 000000006094: 7E0C4106
	v_exp_f32_e32 v7, v7                                       // 000000006098: 7E0E4107
	v_add_f32_e64 v4, v4, 1.0                                  // 00000000609C: D1010004 0001E504
	v_add_f32_e64 v5, v5, 1.0                                  // 0000000060A4: D1010005 0001E505
	v_add_f32_e64 v6, v6, 1.0                                  // 0000000060AC: D1010006 0001E506
	v_add_f32_e64 v7, v7, 1.0                                  // 0000000060B4: D1010007 0001E507
	v_rcp_f32_e32 v4, v4                                       // 0000000060BC: 7E084504
	v_rcp_f32_e32 v5, v5                                       // 0000000060C0: 7E0A4505
	v_rcp_f32_e32 v6, v6                                       // 0000000060C4: 7E0C4506
	v_rcp_f32_e32 v7, v7                                       // 0000000060C8: 7E0E4507
	v_mul_f32_e32 v52, v52, v4                                 // 0000000060CC: 0A680934
	v_mul_f32_e32 v53, v53, v5                                 // 0000000060D0: 0A6A0B35
	v_mul_f32_e32 v54, v54, v6                                 // 0000000060D4: 0A6C0D36
	v_mul_f32_e32 v55, v55, v7                                 // 0000000060D8: 0A6E0F37
	v_mul_f32_e32 v52, v52, v68                                // 0000000060DC: 0A688934
	v_mul_f32_e32 v53, v53, v69                                // 0000000060E0: 0A6A8B35
	v_mul_f32_e32 v54, v54, v70                                // 0000000060E4: 0A6C8D36
	v_mul_f32_e32 v55, v55, v71                                // 0000000060E8: 0A6E8F37
	v_pk_mul_f32 v[4:5], v[56:57], v[56:57]                    // 0000000060EC: D3B14004 18027138
	v_pk_mul_f32 v[6:7], v[58:59], v[58:59]                    // 0000000060F4: D3B14006 1802753A
	v_pk_fma_f32 v[4:5], v[4:5], s[78:79], v[8:9]              // 0000000060FC: D3B04004 1C209D04
	v_pk_fma_f32 v[6:7], v[6:7], s[78:79], v[8:9]              // 000000006104: D3B04006 1C209D06
	v_pk_mul_f32 v[4:5], v[4:5], v[56:57]                      // 00000000610C: D3B14004 18027104
	v_pk_mul_f32 v[6:7], v[6:7], v[58:59]                      // 000000006114: D3B14006 18027506
	v_pk_mul_f32 v[4:5], v[4:5], s[60:61]                      // 00000000611C: D3B14004 18007904
	v_pk_mul_f32 v[6:7], v[6:7], s[60:61]                      // 000000006124: D3B14006 18007906
	v_exp_f32_e32 v4, v4                                       // 00000000612C: 7E084104
	v_exp_f32_e32 v5, v5                                       // 000000006130: 7E0A4105
	v_exp_f32_e32 v6, v6                                       // 000000006134: 7E0C4106
	v_exp_f32_e32 v7, v7                                       // 000000006138: 7E0E4107
	v_add_f32_e64 v4, v4, 1.0                                  // 00000000613C: D1010004 0001E504
	v_add_f32_e64 v5, v5, 1.0                                  // 000000006144: D1010005 0001E505
	v_add_f32_e64 v6, v6, 1.0                                  // 00000000614C: D1010006 0001E506
	v_add_f32_e64 v7, v7, 1.0                                  // 000000006154: D1010007 0001E507
	v_rcp_f32_e32 v4, v4                                       // 00000000615C: 7E084504
	v_rcp_f32_e32 v5, v5                                       // 000000006160: 7E0A4505
	v_rcp_f32_e32 v6, v6                                       // 000000006164: 7E0C4506
	v_rcp_f32_e32 v7, v7                                       // 000000006168: 7E0E4507
	v_mul_f32_e32 v56, v56, v4                                 // 00000000616C: 0A700938
	v_mul_f32_e32 v57, v57, v5                                 // 000000006170: 0A720B39
	v_mul_f32_e32 v58, v58, v6                                 // 000000006174: 0A740D3A
	v_mul_f32_e32 v59, v59, v7                                 // 000000006178: 0A760F3B
	v_mul_f32_e32 v56, v56, v72                                // 00000000617C: 0A709138
	v_mul_f32_e32 v57, v57, v73                                // 000000006180: 0A729339
	v_mul_f32_e32 v58, v58, v74                                // 000000006184: 0A74953A
	v_mul_f32_e32 v59, v59, v75                                // 000000006188: 0A76973B
	s_branch label_0E67                                        // 00000000618C: BF820080

0000000000006190 <label_0DE7>:
	v_mul_f32_e64 v4, -v44, s6                                 // 000000006190: D1050004 20000D2C
	v_mul_f32_e64 v5, -v45, s6                                 // 000000006198: D1050005 20000D2D
	v_mul_f32_e64 v6, -v46, s6                                 // 0000000061A0: D1050006 20000D2E
	v_mul_f32_e64 v7, -v47, s6                                 // 0000000061A8: D1050007 20000D2F
	v_exp_f32_e32 v4, v4                                       // 0000000061B0: 7E084104
	v_exp_f32_e32 v5, v5                                       // 0000000061B4: 7E0A4105
	v_exp_f32_e32 v6, v6                                       // 0000000061B8: 7E0C4106
	v_exp_f32_e32 v7, v7                                       // 0000000061BC: 7E0E4107
	v_add_f32_e64 v4, v4, 1.0                                  // 0000000061C0: D1010004 0001E504
	v_add_f32_e64 v5, v5, 1.0                                  // 0000000061C8: D1010005 0001E505
	v_add_f32_e64 v6, v6, 1.0                                  // 0000000061D0: D1010006 0001E506
	v_add_f32_e64 v7, v7, 1.0                                  // 0000000061D8: D1010007 0001E507
	v_rcp_f32_e32 v4, v4                                       // 0000000061E0: 7E084504
	v_rcp_f32_e32 v5, v5                                       // 0000000061E4: 7E0A4505
	v_rcp_f32_e32 v6, v6                                       // 0000000061E8: 7E0C4506
	v_rcp_f32_e32 v7, v7                                       // 0000000061EC: 7E0E4507
	v_mul_f32_e32 v44, v44, v4                                 // 0000000061F0: 0A58092C
	v_mul_f32_e32 v45, v45, v5                                 // 0000000061F4: 0A5A0B2D
	v_mul_f32_e32 v46, v46, v6                                 // 0000000061F8: 0A5C0D2E
	v_mul_f32_e32 v47, v47, v7                                 // 0000000061FC: 0A5E0F2F
	v_mul_f32_e32 v44, v44, v60                                // 000000006200: 0A58792C
	v_mul_f32_e32 v45, v45, v61                                // 000000006204: 0A5A7B2D
	v_mul_f32_e32 v46, v46, v62                                // 000000006208: 0A5C7D2E
	v_mul_f32_e32 v47, v47, v63                                // 00000000620C: 0A5E7F2F
	v_mul_f32_e64 v4, -v48, s6                                 // 000000006210: D1050004 20000D30
	v_mul_f32_e64 v5, -v49, s6                                 // 000000006218: D1050005 20000D31
	v_mul_f32_e64 v6, -v50, s6                                 // 000000006220: D1050006 20000D32
	v_mul_f32_e64 v7, -v51, s6                                 // 000000006228: D1050007 20000D33
	v_exp_f32_e32 v4, v4                                       // 000000006230: 7E084104
	v_exp_f32_e32 v5, v5                                       // 000000006234: 7E0A4105
	v_exp_f32_e32 v6, v6                                       // 000000006238: 7E0C4106
	v_exp_f32_e32 v7, v7                                       // 00000000623C: 7E0E4107
	v_add_f32_e64 v4, v4, 1.0                                  // 000000006240: D1010004 0001E504
	v_add_f32_e64 v5, v5, 1.0                                  // 000000006248: D1010005 0001E505
	v_add_f32_e64 v6, v6, 1.0                                  // 000000006250: D1010006 0001E506
	v_add_f32_e64 v7, v7, 1.0                                  // 000000006258: D1010007 0001E507
	v_rcp_f32_e32 v4, v4                                       // 000000006260: 7E084504
	v_rcp_f32_e32 v5, v5                                       // 000000006264: 7E0A4505
	v_rcp_f32_e32 v6, v6                                       // 000000006268: 7E0C4506
	v_rcp_f32_e32 v7, v7                                       // 00000000626C: 7E0E4507
	v_mul_f32_e32 v48, v48, v4                                 // 000000006270: 0A600930
	v_mul_f32_e32 v49, v49, v5                                 // 000000006274: 0A620B31
	v_mul_f32_e32 v50, v50, v6                                 // 000000006278: 0A640D32
	v_mul_f32_e32 v51, v51, v7                                 // 00000000627C: 0A660F33
	v_mul_f32_e32 v48, v48, v64                                // 000000006280: 0A608130
	v_mul_f32_e32 v49, v49, v65                                // 000000006284: 0A628331
	v_mul_f32_e32 v50, v50, v66                                // 000000006288: 0A648532
	v_mul_f32_e32 v51, v51, v67                                // 00000000628C: 0A668733
	v_mul_f32_e64 v4, -v52, s6                                 // 000000006290: D1050004 20000D34
	v_mul_f32_e64 v5, -v53, s6                                 // 000000006298: D1050005 20000D35
	v_mul_f32_e64 v6, -v54, s6                                 // 0000000062A0: D1050006 20000D36
	v_mul_f32_e64 v7, -v55, s6                                 // 0000000062A8: D1050007 20000D37
	v_exp_f32_e32 v4, v4                                       // 0000000062B0: 7E084104
	v_exp_f32_e32 v5, v5                                       // 0000000062B4: 7E0A4105
	v_exp_f32_e32 v6, v6                                       // 0000000062B8: 7E0C4106
	v_exp_f32_e32 v7, v7                                       // 0000000062BC: 7E0E4107
	v_add_f32_e64 v4, v4, 1.0                                  // 0000000062C0: D1010004 0001E504
	v_add_f32_e64 v5, v5, 1.0                                  // 0000000062C8: D1010005 0001E505
	v_add_f32_e64 v6, v6, 1.0                                  // 0000000062D0: D1010006 0001E506
	v_add_f32_e64 v7, v7, 1.0                                  // 0000000062D8: D1010007 0001E507
	v_rcp_f32_e32 v4, v4                                       // 0000000062E0: 7E084504
	v_rcp_f32_e32 v5, v5                                       // 0000000062E4: 7E0A4505
	v_rcp_f32_e32 v6, v6                                       // 0000000062E8: 7E0C4506
	v_rcp_f32_e32 v7, v7                                       // 0000000062EC: 7E0E4507
	v_mul_f32_e32 v52, v52, v4                                 // 0000000062F0: 0A680934
	v_mul_f32_e32 v53, v53, v5                                 // 0000000062F4: 0A6A0B35
	v_mul_f32_e32 v54, v54, v6                                 // 0000000062F8: 0A6C0D36
	v_mul_f32_e32 v55, v55, v7                                 // 0000000062FC: 0A6E0F37
	v_mul_f32_e32 v52, v52, v68                                // 000000006300: 0A688934
	v_mul_f32_e32 v53, v53, v69                                // 000000006304: 0A6A8B35
	v_mul_f32_e32 v54, v54, v70                                // 000000006308: 0A6C8D36
	v_mul_f32_e32 v55, v55, v71                                // 00000000630C: 0A6E8F37
	v_mul_f32_e64 v4, -v56, s6                                 // 000000006310: D1050004 20000D38
	v_mul_f32_e64 v5, -v57, s6                                 // 000000006318: D1050005 20000D39
	v_mul_f32_e64 v6, -v58, s6                                 // 000000006320: D1050006 20000D3A
	v_mul_f32_e64 v7, -v59, s6                                 // 000000006328: D1050007 20000D3B
	v_exp_f32_e32 v4, v4                                       // 000000006330: 7E084104
	v_exp_f32_e32 v5, v5                                       // 000000006334: 7E0A4105
	v_exp_f32_e32 v6, v6                                       // 000000006338: 7E0C4106
	v_exp_f32_e32 v7, v7                                       // 00000000633C: 7E0E4107
	v_add_f32_e64 v4, v4, 1.0                                  // 000000006340: D1010004 0001E504
	v_add_f32_e64 v5, v5, 1.0                                  // 000000006348: D1010005 0001E505
	v_add_f32_e64 v6, v6, 1.0                                  // 000000006350: D1010006 0001E506
	v_add_f32_e64 v7, v7, 1.0                                  // 000000006358: D1010007 0001E507
	v_rcp_f32_e32 v4, v4                                       // 000000006360: 7E084504
	v_rcp_f32_e32 v5, v5                                       // 000000006364: 7E0A4505
	v_rcp_f32_e32 v6, v6                                       // 000000006368: 7E0C4506
	v_rcp_f32_e32 v7, v7                                       // 00000000636C: 7E0E4507
	v_mul_f32_e32 v56, v56, v4                                 // 000000006370: 0A700938
	v_mul_f32_e32 v57, v57, v5                                 // 000000006374: 0A720B39
	v_mul_f32_e32 v58, v58, v6                                 // 000000006378: 0A740D3A
	v_mul_f32_e32 v59, v59, v7                                 // 00000000637C: 0A760F3B
	v_mul_f32_e32 v56, v56, v72                                // 000000006380: 0A709138
	v_mul_f32_e32 v57, v57, v73                                // 000000006384: 0A729339
	v_mul_f32_e32 v58, v58, v74                                // 000000006388: 0A74953A
	v_mul_f32_e32 v59, v59, v75                                // 00000000638C: 0A76973B

0000000000006390 <label_0E67>:
	v_cmp_u_f32_e64 s[46:47], v44, v44                         // 000000006390: D048002E 0002592C
	v_add3_u32 v16, v44, v19, 1                                // 000000006398: D1FF0010 0206272C
	v_cndmask_b32_e64 v4, v16, v18, s[46:47]                   // 0000000063A0: D1000004 00BA2510
	v_cmp_u_f32_e64 s[46:47], v45, v45                         // 0000000063A8: D048002E 00025B2D
	v_add3_u32 v16, v45, v19, 1                                // 0000000063B0: D1FF0010 0206272D
	v_cndmask_b32_e64 v5, v16, v18, s[46:47]                   // 0000000063B8: D1000005 00BA2510
	v_perm_b32 v44, v5, v4, s52                                // 0000000063C0: D1ED002C 00D20905
	v_cmp_u_f32_e64 s[46:47], v46, v46                         // 0000000063C8: D048002E 00025D2E
	v_add3_u32 v16, v46, v19, 1                                // 0000000063D0: D1FF0010 0206272E
	v_cndmask_b32_e64 v4, v16, v18, s[46:47]                   // 0000000063D8: D1000004 00BA2510
	v_cmp_u_f32_e64 s[46:47], v47, v47                         // 0000000063E0: D048002E 00025F2F
	v_add3_u32 v16, v47, v19, 1                                // 0000000063E8: D1FF0010 0206272F
	v_cndmask_b32_e64 v5, v16, v18, s[46:47]                   // 0000000063F0: D1000005 00BA2510
	v_perm_b32 v45, v5, v4, s52                                // 0000000063F8: D1ED002D 00D20905
	v_cmp_u_f32_e64 s[46:47], v48, v48                         // 000000006400: D048002E 00026130
	v_add3_u32 v16, v48, v19, 1                                // 000000006408: D1FF0010 02062730
	v_cndmask_b32_e64 v4, v16, v18, s[46:47]                   // 000000006410: D1000004 00BA2510
	v_cmp_u_f32_e64 s[46:47], v49, v49                         // 000000006418: D048002E 00026331
	v_add3_u32 v16, v49, v19, 1                                // 000000006420: D1FF0010 02062731
	v_cndmask_b32_e64 v5, v16, v18, s[46:47]                   // 000000006428: D1000005 00BA2510
	v_perm_b32 v46, v5, v4, s52                                // 000000006430: D1ED002E 00D20905
	v_cmp_u_f32_e64 s[46:47], v50, v50                         // 000000006438: D048002E 00026532
	v_add3_u32 v16, v50, v19, 1                                // 000000006440: D1FF0010 02062732
	v_cndmask_b32_e64 v4, v16, v18, s[46:47]                   // 000000006448: D1000004 00BA2510
	v_cmp_u_f32_e64 s[46:47], v51, v51                         // 000000006450: D048002E 00026733
	v_add3_u32 v16, v51, v19, 1                                // 000000006458: D1FF0010 02062733
	v_cndmask_b32_e64 v5, v16, v18, s[46:47]                   // 000000006460: D1000005 00BA2510
	v_perm_b32 v47, v5, v4, s52                                // 000000006468: D1ED002F 00D20905
	v_cmp_u_f32_e64 s[46:47], v52, v52                         // 000000006470: D048002E 00026934
	v_add3_u32 v16, v52, v19, 1                                // 000000006478: D1FF0010 02062734
	v_cndmask_b32_e64 v4, v16, v18, s[46:47]                   // 000000006480: D1000004 00BA2510
	v_cmp_u_f32_e64 s[46:47], v53, v53                         // 000000006488: D048002E 00026B35
	v_add3_u32 v16, v53, v19, 1                                // 000000006490: D1FF0010 02062735
	v_cndmask_b32_e64 v5, v16, v18, s[46:47]                   // 000000006498: D1000005 00BA2510
	v_perm_b32 v48, v5, v4, s52                                // 0000000064A0: D1ED0030 00D20905
	v_cmp_u_f32_e64 s[46:47], v54, v54                         // 0000000064A8: D048002E 00026D36
	v_add3_u32 v16, v54, v19, 1                                // 0000000064B0: D1FF0010 02062736
	v_cndmask_b32_e64 v4, v16, v18, s[46:47]                   // 0000000064B8: D1000004 00BA2510
	v_cmp_u_f32_e64 s[46:47], v55, v55                         // 0000000064C0: D048002E 00026F37
	v_add3_u32 v16, v55, v19, 1                                // 0000000064C8: D1FF0010 02062737
	v_cndmask_b32_e64 v5, v16, v18, s[46:47]                   // 0000000064D0: D1000005 00BA2510
	v_perm_b32 v49, v5, v4, s52                                // 0000000064D8: D1ED0031 00D20905
	v_cmp_u_f32_e64 s[46:47], v56, v56                         // 0000000064E0: D048002E 00027138
	v_add3_u32 v16, v56, v19, 1                                // 0000000064E8: D1FF0010 02062738
	v_cndmask_b32_e64 v4, v16, v18, s[46:47]                   // 0000000064F0: D1000004 00BA2510
	v_cmp_u_f32_e64 s[46:47], v57, v57                         // 0000000064F8: D048002E 00027339
	v_add3_u32 v16, v57, v19, 1                                // 000000006500: D1FF0010 02062739
	v_cndmask_b32_e64 v5, v16, v18, s[46:47]                   // 000000006508: D1000005 00BA2510
	v_perm_b32 v50, v5, v4, s52                                // 000000006510: D1ED0032 00D20905
	v_cmp_u_f32_e64 s[46:47], v58, v58                         // 000000006518: D048002E 0002753A
	v_add3_u32 v16, v58, v19, 1                                // 000000006520: D1FF0010 0206273A
	v_cndmask_b32_e64 v4, v16, v18, s[46:47]                   // 000000006528: D1000004 00BA2510
	v_cmp_u_f32_e64 s[46:47], v59, v59                         // 000000006530: D048002E 0002773B
	v_add3_u32 v16, v59, v19, 1                                // 000000006538: D1FF0010 0206273B
	v_cndmask_b32_e64 v5, v16, v18, s[46:47]                   // 000000006540: D1000005 00BA2510
	v_perm_b32 v51, v5, v4, s52                                // 000000006548: D1ED0033 00D20905
	ds_write_b64 v20, v[44:45]                                 // 000000006550: D89A0000 00002C14
	ds_write_b64 v20, v[46:47] offset:4352                     // 000000006558: D89A1100 00002E14
	ds_write_b64 v20, v[48:49] offset:2176                     // 000000006560: D89A0880 00003014
	ds_write_b64 v20, v[50:51] offset:6528                     // 000000006568: D89A1980 00003214
	v_lshrrev_b32_e32 v4, 5, v0                                // 000000006570: 20080085
	v_xor_b32_e32 v5, 1, v4                                    // 000000006574: 2A0A0881
	s_mul_i32 s60, s65, 2                                      // 000000006578: 923C8241
	s_cmp_eq_u32 s88, 0                                        // 00000000657C: BF068058
	s_cselect_b32 s61, 1, 4                                    // 000000006580: 853D8481
	s_mul_i32 s60, s61, s60                                    // 000000006584: 923C3C3D
	v_readlane_b32 s82, v3, 0                                  // 000000006588: D2890052 00010103
	s_lshr_b32 s61, s82, 24                                    // 000000006590: 8F3D9852
	s_and_b32 s82, s82, 0xffffff                               // 000000006594: 8652FF52 00FFFFFF
	s_mul_i32 s82, s82, s71                                    // 00000000659C: 92524752
	s_mul_i32 s61, s60, s61                                    // 0000000065A0: 923D3D3C
	s_add_u32 s82, s82, s61                                    // 0000000065A4: 80523D52
	v_mul_lo_u32 v6, v5, s82                                   // 0000000065A8: D2850006 0000A505
	v_readlane_b32 s82, v3, 1                                  // 0000000065B0: D2890052 00010303
	s_lshr_b32 s61, s82, 24                                    // 0000000065B8: 8F3D9852
	s_and_b32 s82, s82, 0xffffff                               // 0000000065BC: 8652FF52 00FFFFFF
	s_mul_i32 s82, s82, s71                                    // 0000000065C4: 92524752
	s_mul_i32 s61, s60, s61                                    // 0000000065C8: 923D3D3C
	s_add_u32 s82, s82, s61                                    // 0000000065CC: 80523D52
	v_mul_lo_u32 v7, v4, s82                                   // 0000000065D0: D2850007 0000A504
	v_add_u32_e32 v38, v6, v7                                  // 0000000065D8: 684C0F06
	v_readlane_b32 s82, v3, 2                                  // 0000000065DC: D2890052 00010503
	s_lshr_b32 s61, s82, 24                                    // 0000000065E4: 8F3D9852
	s_and_b32 s82, s82, 0xffffff                               // 0000000065E8: 8652FF52 00FFFFFF
	s_mul_i32 s82, s82, s71                                    // 0000000065F0: 92524752
	s_mul_i32 s61, s60, s61                                    // 0000000065F4: 923D3D3C
	s_add_u32 s82, s82, s61                                    // 0000000065F8: 80523D52
	v_mul_lo_u32 v6, v5, s82                                   // 0000000065FC: D2850006 0000A505
	v_readlane_b32 s82, v3, 3                                  // 000000006604: D2890052 00010703
	s_lshr_b32 s61, s82, 24                                    // 00000000660C: 8F3D9852
	s_and_b32 s82, s82, 0xffffff                               // 000000006610: 8652FF52 00FFFFFF
	s_mul_i32 s82, s82, s71                                    // 000000006618: 92524752
	s_mul_i32 s61, s60, s61                                    // 00000000661C: 923D3D3C
	s_add_u32 s82, s82, s61                                    // 000000006620: 80523D52
	v_mul_lo_u32 v7, v4, s82                                   // 000000006624: D2850007 0000A504
	v_add_u32_e32 v39, v6, v7                                  // 00000000662C: 684E0F06
	v_readlane_b32 s82, v3, 4                                  // 000000006630: D2890052 00010903
	s_lshr_b32 s61, s82, 24                                    // 000000006638: 8F3D9852
	s_and_b32 s82, s82, 0xffffff                               // 00000000663C: 8652FF52 00FFFFFF
	s_mul_i32 s82, s82, s71                                    // 000000006644: 92524752
	s_mul_i32 s61, s60, s61                                    // 000000006648: 923D3D3C
	s_add_u32 s82, s82, s61                                    // 00000000664C: 80523D52
	v_mul_lo_u32 v6, v5, s82                                   // 000000006650: D2850006 0000A505
	v_readlane_b32 s82, v3, 5                                  // 000000006658: D2890052 00010B03
	s_lshr_b32 s61, s82, 24                                    // 000000006660: 8F3D9852
	s_and_b32 s82, s82, 0xffffff                               // 000000006664: 8652FF52 00FFFFFF
	s_mul_i32 s82, s82, s71                                    // 00000000666C: 92524752
	s_mul_i32 s61, s60, s61                                    // 000000006670: 923D3D3C
	s_add_u32 s82, s82, s61                                    // 000000006674: 80523D52
	v_mul_lo_u32 v7, v4, s82                                   // 000000006678: D2850007 0000A504
	v_add_u32_e32 v40, v6, v7                                  // 000000006680: 68500F06
	v_readlane_b32 s82, v3, 6                                  // 000000006684: D2890052 00010D03
	s_lshr_b32 s61, s82, 24                                    // 00000000668C: 8F3D9852
	s_and_b32 s82, s82, 0xffffff                               // 000000006690: 8652FF52 00FFFFFF
	s_mul_i32 s82, s82, s71                                    // 000000006698: 92524752
	s_mul_i32 s61, s60, s61                                    // 00000000669C: 923D3D3C
	s_add_u32 s82, s82, s61                                    // 0000000066A0: 80523D52
	v_mul_lo_u32 v6, v5, s82                                   // 0000000066A4: D2850006 0000A505
	v_readlane_b32 s82, v3, 7                                  // 0000000066AC: D2890052 00010F03
	s_lshr_b32 s61, s82, 24                                    // 0000000066B4: 8F3D9852
	s_and_b32 s82, s82, 0xffffff                               // 0000000066B8: 8652FF52 00FFFFFF
	s_mul_i32 s82, s82, s71                                    // 0000000066C0: 92524752
	s_mul_i32 s61, s60, s61                                    // 0000000066C4: 923D3D3C
	s_add_u32 s82, s82, s61                                    // 0000000066C8: 80523D52
	v_mul_lo_u32 v7, v4, s82                                   // 0000000066CC: D2850007 0000A504
	v_add_u32_e32 v41, v6, v7                                  // 0000000066D4: 68520F06
	v_and_b32_e32 v4, 31, v0                                   // 0000000066D8: 2608009F
	v_lshrrev_b32_e32 v4, 1, v4                                // 0000000066DC: 20080881
	s_cmp_eq_u32 s88, 0                                        // 0000000066E0: BF068058
	s_cselect_b32 s61, 2, 4                                    // 0000000066E4: 853D8482
	v_mul_lo_u32 v4, v4, s61                                   // 0000000066E8: D2850004 00007B04
	v_and_b32_e64 v5, v0, 1                                    // 0000000066F0: D1130005 00010300
	v_add_u32_e32 v4, v4, v5                                   // 0000000066F8: 68080B04
	v_lshlrev_b32_e32 v4, 2, v4                                // 0000000066FC: 24080882
	v_add_u32_e32 v38, v38, v4                                 // 000000006700: 684C0926
	v_add_u32_e32 v39, v39, v4                                 // 000000006704: 684E0927
	v_add_u32_e32 v40, v40, v4                                 // 000000006708: 68500928
	v_add_u32_e32 v41, v41, v4                                 // 00000000670C: 68520929
	s_waitcnt lgkmcnt(0)                                       // 000000006710: BF8CC07F
	s_barrier                                                  // 000000006714: BF8A0000
	ds_read_b32 v44, v21                                       // 000000006718: D86C0000 2C000015
	ds_read_b32 v45, v21 offset:64                             // 000000006720: D86C0040 2D000015
	ds_read_b32 v46, v21 offset:2176                           // 000000006728: D86C0880 2E000015
	ds_read_b32 v47, v21 offset:2240                           // 000000006730: D86C08C0 2F000015
	ds_read_b32 v48, v21 offset:4352                           // 000000006738: D86C1100 30000015
	ds_read_b32 v49, v21 offset:4416                           // 000000006740: D86C1140 31000015
	ds_read_b32 v50, v21 offset:6528                           // 000000006748: D86C1980 32000015
	ds_read_b32 v51, v21 offset:6592                           // 000000006750: D86C19C0 33000015
	s_waitcnt lgkmcnt(0)                                       // 000000006758: BF8CC07F
	s_mov_b32 s36, -1                                          // 00000000675C: BEA400C1
	s_mov_b32 s37, -1                                          // 000000006760: BEA500C1
	v_mov_b32_e32 v7, 0                                        // 000000006764: 7E0E0280
	s_or_b32 s9, s9, 0x40000                                   // 000000006768: 8709FF09 00040000
	s_mov_b64 exec, s[36:37]                                   // 000000006770: BEFE0124
	v_mov_b32_e32 v6, v38                                      // 000000006774: 7E0C0326
	s_mov_b64 s[60:61], 0                                      // 000000006778: BEBC0180
	v_readlane_b32 s82, v3, 0                                  // 00000000677C: D2890052 00010103
	s_and_b32 s82, s82, 0xffffff                               // 000000006784: 8652FF52 00FFFFFF
	s_cmp_lt_u32 s82, s66                                      // 00000000678C: BF0A4252
	s_cselect_b32 s20, s36, s60                                // 000000006790: 85143C24
	v_readlane_b32 s82, v3, 1                                  // 000000006794: D2890052 00010303
	s_and_b32 s82, s82, 0xffffff                               // 00000000679C: 8652FF52 00FFFFFF
	s_cmp_lt_u32 s82, s66                                      // 0000000067A4: BF0A4252
	s_cselect_b32 s21, s36, s60                                // 0000000067A8: 85153C24
	s_mov_b64 exec, s[20:21]                                   // 0000000067AC: BEFE0114
	buffer_store_dword v44, v6, s[8:11], 0 offen               // 0000000067B0: E0701000 80022C06
	buffer_store_dword v46, v6, s[8:11], 0 offen offset:128    // 0000000067B8: E0701080 80022E06
	s_mov_b64 exec, s[36:37]                                   // 0000000067C0: BEFE0124
	v_mov_b32_e32 v6, v39                                      // 0000000067C4: 7E0C0327
	s_mov_b64 s[60:61], 0                                      // 0000000067C8: BEBC0180
	v_readlane_b32 s82, v3, 2                                  // 0000000067CC: D2890052 00010503
	s_and_b32 s82, s82, 0xffffff                               // 0000000067D4: 8652FF52 00FFFFFF
	s_cmp_lt_u32 s82, s66                                      // 0000000067DC: BF0A4252
	s_cselect_b32 s20, s36, s60                                // 0000000067E0: 85143C24
	v_readlane_b32 s82, v3, 3                                  // 0000000067E4: D2890052 00010703
	s_and_b32 s82, s82, 0xffffff                               // 0000000067EC: 8652FF52 00FFFFFF
	s_cmp_lt_u32 s82, s66                                      // 0000000067F4: BF0A4252
	s_cselect_b32 s21, s36, s60                                // 0000000067F8: 85153C24
	s_mov_b64 exec, s[20:21]                                   // 0000000067FC: BEFE0114
	buffer_store_dword v45, v6, s[8:11], 0 offen               // 000000006800: E0701000 80022D06
	buffer_store_dword v47, v6, s[8:11], 0 offen offset:128    // 000000006808: E0701080 80022F06
	s_mov_b64 exec, s[36:37]                                   // 000000006810: BEFE0124
	v_mov_b32_e32 v6, v40                                      // 000000006814: 7E0C0328
	s_mov_b64 s[60:61], 0                                      // 000000006818: BEBC0180
	v_readlane_b32 s82, v3, 4                                  // 00000000681C: D2890052 00010903
	s_and_b32 s82, s82, 0xffffff                               // 000000006824: 8652FF52 00FFFFFF
	s_cmp_lt_u32 s82, s66                                      // 00000000682C: BF0A4252
	s_cselect_b32 s20, s36, s60                                // 000000006830: 85143C24
	v_readlane_b32 s82, v3, 5                                  // 000000006834: D2890052 00010B03
	s_and_b32 s82, s82, 0xffffff                               // 00000000683C: 8652FF52 00FFFFFF
	s_cmp_lt_u32 s82, s66                                      // 000000006844: BF0A4252
	s_cselect_b32 s21, s36, s60                                // 000000006848: 85153C24
	s_mov_b64 exec, s[20:21]                                   // 00000000684C: BEFE0114
	buffer_store_dword v48, v6, s[8:11], 0 offen               // 000000006850: E0701000 80023006
	buffer_store_dword v50, v6, s[8:11], 0 offen offset:128    // 000000006858: E0701080 80023206
	s_mov_b64 exec, s[36:37]                                   // 000000006860: BEFE0124
	v_mov_b32_e32 v6, v41                                      // 000000006864: 7E0C0329
	s_mov_b64 s[60:61], 0                                      // 000000006868: BEBC0180
	v_readlane_b32 s82, v3, 6                                  // 00000000686C: D2890052 00010D03
	s_and_b32 s82, s82, 0xffffff                               // 000000006874: 8652FF52 00FFFFFF
	s_cmp_lt_u32 s82, s66                                      // 00000000687C: BF0A4252
	s_cselect_b32 s20, s36, s60                                // 000000006880: 85143C24
	v_readlane_b32 s82, v3, 7                                  // 000000006884: D2890052 00010F03
	s_and_b32 s82, s82, 0xffffff                               // 00000000688C: 8652FF52 00FFFFFF
	s_cmp_lt_u32 s82, s66                                      // 000000006894: BF0A4252
	s_cselect_b32 s21, s36, s60                                // 000000006898: 85153C24
	s_mov_b64 exec, s[20:21]                                   // 00000000689C: BEFE0114
	buffer_store_dword v49, v6, s[8:11], 0 offen               // 0000000068A0: E0701000 80023106
	buffer_store_dword v51, v6, s[8:11], 0 offen offset:128    // 0000000068A8: E0701080 80023306
	s_mov_b64 exec, s[36:37]                                   // 0000000068B0: BEFE0124
	s_branch label_11D3                                        // 0000000068B4: BF820222

00000000000068b8 <label_0FB1>:
	ds_write_b64 v20, v[44:45]                                 // 0000000068B8: D89A0000 00002C14
	ds_write_b64 v20, v[48:49] offset:4352                     // 0000000068C0: D89A1100 00003014
	ds_write_b64 v20, v[52:53] offset:2176                     // 0000000068C8: D89A0880 00003414
	ds_write_b64 v20, v[56:57] offset:6528                     // 0000000068D0: D89A1980 00003814
	v_lshrrev_b32_e32 v4, 5, v0                                // 0000000068D8: 20080085
	v_xor_b32_e32 v5, 1, v4                                    // 0000000068DC: 2A0A0881
	s_mul_i32 s60, s65, 2                                      // 0000000068E0: 923C8241
	s_cmp_eq_u32 s88, 0                                        // 0000000068E4: BF068058
	s_cselect_b32 s61, 1, 4                                    // 0000000068E8: 853D8481
	s_mul_i32 s60, s61, s60                                    // 0000000068EC: 923C3C3D
	v_readlane_b32 s82, v3, 0                                  // 0000000068F0: D2890052 00010103
	s_lshr_b32 s61, s82, 24                                    // 0000000068F8: 8F3D9852
	s_and_b32 s82, s82, 0xffffff                               // 0000000068FC: 8652FF52 00FFFFFF
	s_mul_i32 s82, s82, s71                                    // 000000006904: 92524752
	s_mul_i32 s61, s60, s61                                    // 000000006908: 923D3D3C
	s_add_u32 s82, s82, s61                                    // 00000000690C: 80523D52
	v_mul_lo_u32 v6, v5, s82                                   // 000000006910: D2850006 0000A505
	v_readlane_b32 s82, v3, 1                                  // 000000006918: D2890052 00010303
	s_lshr_b32 s61, s82, 24                                    // 000000006920: 8F3D9852
	s_and_b32 s82, s82, 0xffffff                               // 000000006924: 8652FF52 00FFFFFF
	s_mul_i32 s82, s82, s71                                    // 00000000692C: 92524752
	s_mul_i32 s61, s60, s61                                    // 000000006930: 923D3D3C
	s_add_u32 s82, s82, s61                                    // 000000006934: 80523D52
	v_mul_lo_u32 v7, v4, s82                                   // 000000006938: D2850007 0000A504
	v_add_u32_e32 v38, v6, v7                                  // 000000006940: 684C0F06
	v_readlane_b32 s82, v3, 2                                  // 000000006944: D2890052 00010503
	s_lshr_b32 s61, s82, 24                                    // 00000000694C: 8F3D9852
	s_and_b32 s82, s82, 0xffffff                               // 000000006950: 8652FF52 00FFFFFF
	s_mul_i32 s82, s82, s71                                    // 000000006958: 92524752
	s_mul_i32 s61, s60, s61                                    // 00000000695C: 923D3D3C
	s_add_u32 s82, s82, s61                                    // 000000006960: 80523D52
	v_mul_lo_u32 v6, v5, s82                                   // 000000006964: D2850006 0000A505
	v_readlane_b32 s82, v3, 3                                  // 00000000696C: D2890052 00010703
	s_lshr_b32 s61, s82, 24                                    // 000000006974: 8F3D9852
	s_and_b32 s82, s82, 0xffffff                               // 000000006978: 8652FF52 00FFFFFF
	s_mul_i32 s82, s82, s71                                    // 000000006980: 92524752
	s_mul_i32 s61, s60, s61                                    // 000000006984: 923D3D3C
	s_add_u32 s82, s82, s61                                    // 000000006988: 80523D52
	v_mul_lo_u32 v7, v4, s82                                   // 00000000698C: D2850007 0000A504
	v_add_u32_e32 v39, v6, v7                                  // 000000006994: 684E0F06
	v_readlane_b32 s82, v3, 4                                  // 000000006998: D2890052 00010903
	s_lshr_b32 s61, s82, 24                                    // 0000000069A0: 8F3D9852
	s_and_b32 s82, s82, 0xffffff                               // 0000000069A4: 8652FF52 00FFFFFF
	s_mul_i32 s82, s82, s71                                    // 0000000069AC: 92524752
	s_mul_i32 s61, s60, s61                                    // 0000000069B0: 923D3D3C
	s_add_u32 s82, s82, s61                                    // 0000000069B4: 80523D52
	v_mul_lo_u32 v6, v5, s82                                   // 0000000069B8: D2850006 0000A505
	v_readlane_b32 s82, v3, 5                                  // 0000000069C0: D2890052 00010B03
	s_lshr_b32 s61, s82, 24                                    // 0000000069C8: 8F3D9852
	s_and_b32 s82, s82, 0xffffff                               // 0000000069CC: 8652FF52 00FFFFFF
	s_mul_i32 s82, s82, s71                                    // 0000000069D4: 92524752
	s_mul_i32 s61, s60, s61                                    // 0000000069D8: 923D3D3C
	s_add_u32 s82, s82, s61                                    // 0000000069DC: 80523D52
	v_mul_lo_u32 v7, v4, s82                                   // 0000000069E0: D2850007 0000A504
	v_add_u32_e32 v40, v6, v7                                  // 0000000069E8: 68500F06
	v_readlane_b32 s82, v3, 6                                  // 0000000069EC: D2890052 00010D03
	s_lshr_b32 s61, s82, 24                                    // 0000000069F4: 8F3D9852
	s_and_b32 s82, s82, 0xffffff                               // 0000000069F8: 8652FF52 00FFFFFF
	s_mul_i32 s82, s82, s71                                    // 000000006A00: 92524752
	s_mul_i32 s61, s60, s61                                    // 000000006A04: 923D3D3C
	s_add_u32 s82, s82, s61                                    // 000000006A08: 80523D52
	v_mul_lo_u32 v6, v5, s82                                   // 000000006A0C: D2850006 0000A505
	v_readlane_b32 s82, v3, 7                                  // 000000006A14: D2890052 00010F03
	s_lshr_b32 s61, s82, 24                                    // 000000006A1C: 8F3D9852
	s_and_b32 s82, s82, 0xffffff                               // 000000006A20: 8652FF52 00FFFFFF
	s_mul_i32 s82, s82, s71                                    // 000000006A28: 92524752
	s_mul_i32 s61, s60, s61                                    // 000000006A2C: 923D3D3C
	s_add_u32 s82, s82, s61                                    // 000000006A30: 80523D52
	v_mul_lo_u32 v7, v4, s82                                   // 000000006A34: D2850007 0000A504
	v_add_u32_e32 v41, v6, v7                                  // 000000006A3C: 68520F06
	v_and_b32_e32 v4, 31, v0                                   // 000000006A40: 2608009F
	v_lshrrev_b32_e32 v4, 1, v4                                // 000000006A44: 20080881
	s_cmp_eq_u32 s88, 0                                        // 000000006A48: BF068058
	s_cselect_b32 s61, 2, 4                                    // 000000006A4C: 853D8482
	v_mul_lo_u32 v4, v4, s61                                   // 000000006A50: D2850004 00007B04
	v_and_b32_e64 v5, v0, 1                                    // 000000006A58: D1130005 00010300
	v_add_u32_e32 v4, v4, v5                                   // 000000006A60: 68080B04
	v_lshlrev_b32_e32 v4, 2, v4                                // 000000006A64: 24080882
	v_add_u32_e32 v38, v38, v4                                 // 000000006A68: 684C0926
	v_add_u32_e32 v39, v39, v4                                 // 000000006A6C: 684E0927
	v_add_u32_e32 v40, v40, v4                                 // 000000006A70: 68500928
	v_add_u32_e32 v41, v41, v4                                 // 000000006A74: 68520929
	s_waitcnt lgkmcnt(0)                                       // 000000006A78: BF8CC07F
	s_barrier                                                  // 000000006A7C: BF8A0000
	ds_read_b32 v44, v21                                       // 000000006A80: D86C0000 2C000015
	ds_read_b32 v45, v21 offset:64                             // 000000006A88: D86C0040 2D000015
	ds_read_b32 v48, v21 offset:2176                           // 000000006A90: D86C0880 30000015
	ds_read_b32 v49, v21 offset:2240                           // 000000006A98: D86C08C0 31000015
	ds_read_b32 v52, v21 offset:4352                           // 000000006AA0: D86C1100 34000015
	ds_read_b32 v53, v21 offset:4416                           // 000000006AA8: D86C1140 35000015
	ds_read_b32 v56, v21 offset:6528                           // 000000006AB0: D86C1980 38000015
	ds_read_b32 v57, v21 offset:6592                           // 000000006AB8: D86C19C0 39000015
	s_waitcnt lgkmcnt(0)                                       // 000000006AC0: BF8CC07F
	s_mov_b32 s36, -1                                          // 000000006AC4: BEA400C1
	s_mov_b32 s37, -1                                          // 000000006AC8: BEA500C1
	v_mov_b32_e32 v7, 0                                        // 000000006ACC: 7E0E0280
	s_mov_b64 exec, s[36:37]                                   // 000000006AD0: BEFE0124
	v_mov_b32_e32 v6, v38                                      // 000000006AD4: 7E0C0326
	s_mov_b64 s[60:61], 0                                      // 000000006AD8: BEBC0180
	v_readlane_b32 s82, v3, 0                                  // 000000006ADC: D2890052 00010103
	s_and_b32 s82, s82, 0xffffff                               // 000000006AE4: 8652FF52 00FFFFFF
	s_cmp_lt_u32 s82, s66                                      // 000000006AEC: BF0A4252
	s_cselect_b32 s20, s36, s60                                // 000000006AF0: 85143C24
	v_readlane_b32 s82, v3, 1                                  // 000000006AF4: D2890052 00010303
	s_and_b32 s82, s82, 0xffffff                               // 000000006AFC: 8652FF52 00FFFFFF
	s_cmp_lt_u32 s82, s66                                      // 000000006B04: BF0A4252
	s_cselect_b32 s21, s36, s60                                // 000000006B08: 85153C24
	s_mov_b64 exec, s[20:21]                                   // 000000006B0C: BEFE0114
	global_atomic_add_f32 v6, v44, s[8:9]                      // 000000006B10: DD348000 00082C06
	global_atomic_add_f32 v6, v48, s[8:9] offset:256           // 000000006B18: DD348100 00083006
	s_mov_b64 exec, s[36:37]                                   // 000000006B20: BEFE0124
	v_mov_b32_e32 v6, v39                                      // 000000006B24: 7E0C0327
	s_mov_b64 s[60:61], 0                                      // 000000006B28: BEBC0180
	v_readlane_b32 s82, v3, 2                                  // 000000006B2C: D2890052 00010503
	s_and_b32 s82, s82, 0xffffff                               // 000000006B34: 8652FF52 00FFFFFF
	s_cmp_lt_u32 s82, s66                                      // 000000006B3C: BF0A4252
	s_cselect_b32 s20, s36, s60                                // 000000006B40: 85143C24
	v_readlane_b32 s82, v3, 3                                  // 000000006B44: D2890052 00010703
	s_and_b32 s82, s82, 0xffffff                               // 000000006B4C: 8652FF52 00FFFFFF
	s_cmp_lt_u32 s82, s66                                      // 000000006B54: BF0A4252
	s_cselect_b32 s21, s36, s60                                // 000000006B58: 85153C24
	s_mov_b64 exec, s[20:21]                                   // 000000006B5C: BEFE0114
	global_atomic_add_f32 v6, v45, s[8:9]                      // 000000006B60: DD348000 00082D06
	global_atomic_add_f32 v6, v49, s[8:9] offset:256           // 000000006B68: DD348100 00083106
	s_mov_b64 exec, s[36:37]                                   // 000000006B70: BEFE0124
	v_mov_b32_e32 v6, v40                                      // 000000006B74: 7E0C0328
	s_mov_b64 s[60:61], 0                                      // 000000006B78: BEBC0180
	v_readlane_b32 s82, v3, 4                                  // 000000006B7C: D2890052 00010903
	s_and_b32 s82, s82, 0xffffff                               // 000000006B84: 8652FF52 00FFFFFF
	s_cmp_lt_u32 s82, s66                                      // 000000006B8C: BF0A4252
	s_cselect_b32 s20, s36, s60                                // 000000006B90: 85143C24
	v_readlane_b32 s82, v3, 5                                  // 000000006B94: D2890052 00010B03
	s_and_b32 s82, s82, 0xffffff                               // 000000006B9C: 8652FF52 00FFFFFF
	s_cmp_lt_u32 s82, s66                                      // 000000006BA4: BF0A4252
	s_cselect_b32 s21, s36, s60                                // 000000006BA8: 85153C24
	s_mov_b64 exec, s[20:21]                                   // 000000006BAC: BEFE0114
	global_atomic_add_f32 v6, v52, s[8:9]                      // 000000006BB0: DD348000 00083406
	global_atomic_add_f32 v6, v56, s[8:9] offset:256           // 000000006BB8: DD348100 00083806
	s_mov_b64 exec, s[36:37]                                   // 000000006BC0: BEFE0124
	v_mov_b32_e32 v6, v41                                      // 000000006BC4: 7E0C0329
	s_mov_b64 s[60:61], 0                                      // 000000006BC8: BEBC0180
	v_readlane_b32 s82, v3, 6                                  // 000000006BCC: D2890052 00010D03
	s_and_b32 s82, s82, 0xffffff                               // 000000006BD4: 8652FF52 00FFFFFF
	s_cmp_lt_u32 s82, s66                                      // 000000006BDC: BF0A4252
	s_cselect_b32 s20, s36, s60                                // 000000006BE0: 85143C24
	v_readlane_b32 s82, v3, 7                                  // 000000006BE4: D2890052 00010F03
	s_and_b32 s82, s82, 0xffffff                               // 000000006BEC: 8652FF52 00FFFFFF
	s_cmp_lt_u32 s82, s66                                      // 000000006BF4: BF0A4252
	s_cselect_b32 s21, s36, s60                                // 000000006BF8: 85153C24
	s_mov_b64 exec, s[20:21]                                   // 000000006BFC: BEFE0114
	global_atomic_add_f32 v6, v53, s[8:9]                      // 000000006C00: DD348000 00083506
	global_atomic_add_f32 v6, v57, s[8:9] offset:256           // 000000006C08: DD348100 00083906
	s_mov_b64 exec, s[36:37]                                   // 000000006C10: BEFE0124
	ds_write_b64 v20, v[46:47]                                 // 000000006C14: D89A0000 00002E14
	ds_write_b64 v20, v[50:51] offset:4352                     // 000000006C1C: D89A1100 00003214
	ds_write_b64 v20, v[54:55] offset:2176                     // 000000006C24: D89A0880 00003614
	ds_write_b64 v20, v[58:59] offset:6528                     // 000000006C2C: D89A1980 00003A14
	s_waitcnt lgkmcnt(0)                                       // 000000006C34: BF8CC07F
	s_barrier                                                  // 000000006C38: BF8A0000
	ds_read_b32 v46, v21                                       // 000000006C3C: D86C0000 2E000015
	ds_read_b32 v47, v21 offset:64                             // 000000006C44: D86C0040 2F000015
	ds_read_b32 v50, v21 offset:2176                           // 000000006C4C: D86C0880 32000015
	ds_read_b32 v51, v21 offset:2240                           // 000000006C54: D86C08C0 33000015
	ds_read_b32 v54, v21 offset:4352                           // 000000006C5C: D86C1100 36000015
	ds_read_b32 v55, v21 offset:4416                           // 000000006C64: D86C1140 37000015
	ds_read_b32 v58, v21 offset:6528                           // 000000006C6C: D86C1980 3A000015
	ds_read_b32 v59, v21 offset:6592                           // 000000006C74: D86C19C0 3B000015
	s_waitcnt lgkmcnt(0)                                       // 000000006C7C: BF8CC07F
	v_mov_b32_e32 v7, 0                                        // 000000006C80: 7E0E0280
	s_mov_b64 exec, s[36:37]                                   // 000000006C84: BEFE0124
	v_mov_b32_e32 v6, v38                                      // 000000006C88: 7E0C0326
	s_mov_b64 s[60:61], 0                                      // 000000006C8C: BEBC0180
	v_readlane_b32 s82, v3, 0                                  // 000000006C90: D2890052 00010103
	s_and_b32 s82, s82, 0xffffff                               // 000000006C98: 8652FF52 00FFFFFF
	s_cmp_lt_u32 s82, s66                                      // 000000006CA0: BF0A4252
	s_cselect_b32 s20, s36, s60                                // 000000006CA4: 85143C24
	v_readlane_b32 s82, v3, 1                                  // 000000006CA8: D2890052 00010303
	s_and_b32 s82, s82, 0xffffff                               // 000000006CB0: 8652FF52 00FFFFFF
	s_cmp_lt_u32 s82, s66                                      // 000000006CB8: BF0A4252
	s_cselect_b32 s21, s36, s60                                // 000000006CBC: 85153C24
	s_mov_b64 exec, s[20:21]                                   // 000000006CC0: BEFE0114
	global_atomic_add_f32 v6, v46, s[8:9] offset:8             // 000000006CC4: DD348008 00082E06
	global_atomic_add_f32 v6, v50, s[8:9] offset:264           // 000000006CCC: DD348108 00083206
	s_mov_b64 exec, s[36:37]                                   // 000000006CD4: BEFE0124
	v_mov_b32_e32 v6, v39                                      // 000000006CD8: 7E0C0327
	s_mov_b64 s[60:61], 0                                      // 000000006CDC: BEBC0180
	v_readlane_b32 s82, v3, 2                                  // 000000006CE0: D2890052 00010503
	s_and_b32 s82, s82, 0xffffff                               // 000000006CE8: 8652FF52 00FFFFFF
	s_cmp_lt_u32 s82, s66                                      // 000000006CF0: BF0A4252
	s_cselect_b32 s20, s36, s60                                // 000000006CF4: 85143C24
	v_readlane_b32 s82, v3, 3                                  // 000000006CF8: D2890052 00010703
	s_and_b32 s82, s82, 0xffffff                               // 000000006D00: 8652FF52 00FFFFFF
	s_cmp_lt_u32 s82, s66                                      // 000000006D08: BF0A4252
	s_cselect_b32 s21, s36, s60                                // 000000006D0C: 85153C24
	s_mov_b64 exec, s[20:21]                                   // 000000006D10: BEFE0114
	global_atomic_add_f32 v6, v47, s[8:9] offset:8             // 000000006D14: DD348008 00082F06
	global_atomic_add_f32 v6, v51, s[8:9] offset:264           // 000000006D1C: DD348108 00083306
	s_mov_b64 exec, s[36:37]                                   // 000000006D24: BEFE0124
	v_mov_b32_e32 v6, v40                                      // 000000006D28: 7E0C0328
	s_mov_b64 s[60:61], 0                                      // 000000006D2C: BEBC0180
	v_readlane_b32 s82, v3, 4                                  // 000000006D30: D2890052 00010903
	s_and_b32 s82, s82, 0xffffff                               // 000000006D38: 8652FF52 00FFFFFF
	s_cmp_lt_u32 s82, s66                                      // 000000006D40: BF0A4252
	s_cselect_b32 s20, s36, s60                                // 000000006D44: 85143C24
	v_readlane_b32 s82, v3, 5                                  // 000000006D48: D2890052 00010B03
	s_and_b32 s82, s82, 0xffffff                               // 000000006D50: 8652FF52 00FFFFFF
	s_cmp_lt_u32 s82, s66                                      // 000000006D58: BF0A4252
	s_cselect_b32 s21, s36, s60                                // 000000006D5C: 85153C24
	s_mov_b64 exec, s[20:21]                                   // 000000006D60: BEFE0114
	global_atomic_add_f32 v6, v54, s[8:9] offset:8             // 000000006D64: DD348008 00083606
	global_atomic_add_f32 v6, v58, s[8:9] offset:264           // 000000006D6C: DD348108 00083A06
	s_mov_b64 exec, s[36:37]                                   // 000000006D74: BEFE0124
	v_mov_b32_e32 v6, v41                                      // 000000006D78: 7E0C0329
	s_mov_b64 s[60:61], 0                                      // 000000006D7C: BEBC0180
	v_readlane_b32 s82, v3, 6                                  // 000000006D80: D2890052 00010D03
	s_and_b32 s82, s82, 0xffffff                               // 000000006D88: 8652FF52 00FFFFFF
	s_cmp_lt_u32 s82, s66                                      // 000000006D90: BF0A4252
	s_cselect_b32 s20, s36, s60                                // 000000006D94: 85143C24
	v_readlane_b32 s82, v3, 7                                  // 000000006D98: D2890052 00010F03
	s_and_b32 s82, s82, 0xffffff                               // 000000006DA0: 8652FF52 00FFFFFF
	s_cmp_lt_u32 s82, s66                                      // 000000006DA8: BF0A4252
	s_cselect_b32 s21, s36, s60                                // 000000006DAC: 85153C24
	s_mov_b64 exec, s[20:21]                                   // 000000006DB0: BEFE0114
	global_atomic_add_f32 v6, v55, s[8:9] offset:8             // 000000006DB4: DD348008 00083706
	global_atomic_add_f32 v6, v59, s[8:9] offset:264           // 000000006DBC: DD348108 00083B06
	s_mov_b64 exec, s[36:37]                                   // 000000006DC4: BEFE0124
	ds_write_b64 v20, v[60:61]                                 // 000000006DC8: D89A0000 00003C14
	ds_write_b64 v20, v[64:65] offset:4352                     // 000000006DD0: D89A1100 00004014
	ds_write_b64 v20, v[68:69] offset:2176                     // 000000006DD8: D89A0880 00004414
	ds_write_b64 v20, v[72:73] offset:6528                     // 000000006DE0: D89A1980 00004814
	s_waitcnt lgkmcnt(0)                                       // 000000006DE8: BF8CC07F
	s_barrier                                                  // 000000006DEC: BF8A0000
	ds_read_b32 v60, v21                                       // 000000006DF0: D86C0000 3C000015
	ds_read_b32 v61, v21 offset:64                             // 000000006DF8: D86C0040 3D000015
	ds_read_b32 v64, v21 offset:2176                           // 000000006E00: D86C0880 40000015
	ds_read_b32 v65, v21 offset:2240                           // 000000006E08: D86C08C0 41000015
	ds_read_b32 v68, v21 offset:4352                           // 000000006E10: D86C1100 44000015
	ds_read_b32 v69, v21 offset:4416                           // 000000006E18: D86C1140 45000015
	ds_read_b32 v72, v21 offset:6528                           // 000000006E20: D86C1980 48000015
	ds_read_b32 v73, v21 offset:6592                           // 000000006E28: D86C19C0 49000015
	s_mul_i32 s60, s65, 4                                      // 000000006E30: 923C8441
	s_add_u32 s8, s60, s8                                      // 000000006E34: 8008083C
	s_addc_u32 s9, 0, s9                                       // 000000006E38: 82090980
	s_waitcnt lgkmcnt(0)                                       // 000000006E3C: BF8CC07F
	v_mov_b32_e32 v7, 0                                        // 000000006E40: 7E0E0280
	s_mov_b64 exec, s[36:37]                                   // 000000006E44: BEFE0124
	v_mov_b32_e32 v6, v38                                      // 000000006E48: 7E0C0326
	s_mov_b64 s[60:61], 0                                      // 000000006E4C: BEBC0180
	v_readlane_b32 s82, v3, 0                                  // 000000006E50: D2890052 00010103
	s_and_b32 s82, s82, 0xffffff                               // 000000006E58: 8652FF52 00FFFFFF
	s_cmp_lt_u32 s82, s66                                      // 000000006E60: BF0A4252
	s_cselect_b32 s20, s36, s60                                // 000000006E64: 85143C24
	v_readlane_b32 s82, v3, 1                                  // 000000006E68: D2890052 00010303
	s_and_b32 s82, s82, 0xffffff                               // 000000006E70: 8652FF52 00FFFFFF
	s_cmp_lt_u32 s82, s66                                      // 000000006E78: BF0A4252
	s_cselect_b32 s21, s36, s60                                // 000000006E7C: 85153C24
	s_mov_b64 exec, s[20:21]                                   // 000000006E80: BEFE0114
	global_atomic_add_f32 v6, v60, s[8:9]                      // 000000006E84: DD348000 00083C06
	global_atomic_add_f32 v6, v64, s[8:9] offset:256           // 000000006E8C: DD348100 00084006
	s_mov_b64 exec, s[36:37]                                   // 000000006E94: BEFE0124
	v_mov_b32_e32 v6, v39                                      // 000000006E98: 7E0C0327
	s_mov_b64 s[60:61], 0                                      // 000000006E9C: BEBC0180
	v_readlane_b32 s82, v3, 2                                  // 000000006EA0: D2890052 00010503
	s_and_b32 s82, s82, 0xffffff                               // 000000006EA8: 8652FF52 00FFFFFF
	s_cmp_lt_u32 s82, s66                                      // 000000006EB0: BF0A4252
	s_cselect_b32 s20, s36, s60                                // 000000006EB4: 85143C24
	v_readlane_b32 s82, v3, 3                                  // 000000006EB8: D2890052 00010703
	s_and_b32 s82, s82, 0xffffff                               // 000000006EC0: 8652FF52 00FFFFFF
	s_cmp_lt_u32 s82, s66                                      // 000000006EC8: BF0A4252
	s_cselect_b32 s21, s36, s60                                // 000000006ECC: 85153C24
	s_mov_b64 exec, s[20:21]                                   // 000000006ED0: BEFE0114
	global_atomic_add_f32 v6, v61, s[8:9]                      // 000000006ED4: DD348000 00083D06
	global_atomic_add_f32 v6, v65, s[8:9] offset:256           // 000000006EDC: DD348100 00084106
	s_mov_b64 exec, s[36:37]                                   // 000000006EE4: BEFE0124
	v_mov_b32_e32 v6, v40                                      // 000000006EE8: 7E0C0328
	s_mov_b64 s[60:61], 0                                      // 000000006EEC: BEBC0180
	v_readlane_b32 s82, v3, 4                                  // 000000006EF0: D2890052 00010903
	s_and_b32 s82, s82, 0xffffff                               // 000000006EF8: 8652FF52 00FFFFFF
	s_cmp_lt_u32 s82, s66                                      // 000000006F00: BF0A4252
	s_cselect_b32 s20, s36, s60                                // 000000006F04: 85143C24
	v_readlane_b32 s82, v3, 5                                  // 000000006F08: D2890052 00010B03
	s_and_b32 s82, s82, 0xffffff                               // 000000006F10: 8652FF52 00FFFFFF
	s_cmp_lt_u32 s82, s66                                      // 000000006F18: BF0A4252
	s_cselect_b32 s21, s36, s60                                // 000000006F1C: 85153C24
	s_mov_b64 exec, s[20:21]                                   // 000000006F20: BEFE0114
	global_atomic_add_f32 v6, v68, s[8:9]                      // 000000006F24: DD348000 00084406
	global_atomic_add_f32 v6, v72, s[8:9] offset:256           // 000000006F2C: DD348100 00084806
	s_mov_b64 exec, s[36:37]                                   // 000000006F34: BEFE0124
	v_mov_b32_e32 v6, v41                                      // 000000006F38: 7E0C0329
	s_mov_b64 s[60:61], 0                                      // 000000006F3C: BEBC0180
	v_readlane_b32 s82, v3, 6                                  // 000000006F40: D2890052 00010D03
	s_and_b32 s82, s82, 0xffffff                               // 000000006F48: 8652FF52 00FFFFFF
	s_cmp_lt_u32 s82, s66                                      // 000000006F50: BF0A4252
	s_cselect_b32 s20, s36, s60                                // 000000006F54: 85143C24
	v_readlane_b32 s82, v3, 7                                  // 000000006F58: D2890052 00010F03
	s_and_b32 s82, s82, 0xffffff                               // 000000006F60: 8652FF52 00FFFFFF
	s_cmp_lt_u32 s82, s66                                      // 000000006F68: BF0A4252
	s_cselect_b32 s21, s36, s60                                // 000000006F6C: 85153C24
	s_mov_b64 exec, s[20:21]                                   // 000000006F70: BEFE0114
	global_atomic_add_f32 v6, v69, s[8:9]                      // 000000006F74: DD348000 00084506
	global_atomic_add_f32 v6, v73, s[8:9] offset:256           // 000000006F7C: DD348100 00084906
	s_mov_b64 exec, s[36:37]                                   // 000000006F84: BEFE0124
	ds_write_b64 v20, v[62:63]                                 // 000000006F88: D89A0000 00003E14
	ds_write_b64 v20, v[66:67] offset:4352                     // 000000006F90: D89A1100 00004214
	ds_write_b64 v20, v[70:71] offset:2176                     // 000000006F98: D89A0880 00004614
	ds_write_b64 v20, v[74:75] offset:6528                     // 000000006FA0: D89A1980 00004A14
	s_waitcnt lgkmcnt(0)                                       // 000000006FA8: BF8CC07F
	s_barrier                                                  // 000000006FAC: BF8A0000
	ds_read_b32 v62, v21                                       // 000000006FB0: D86C0000 3E000015
	ds_read_b32 v63, v21 offset:64                             // 000000006FB8: D86C0040 3F000015
	ds_read_b32 v66, v21 offset:2176                           // 000000006FC0: D86C0880 42000015
	ds_read_b32 v67, v21 offset:2240                           // 000000006FC8: D86C08C0 43000015
	ds_read_b32 v70, v21 offset:4352                           // 000000006FD0: D86C1100 46000015
	ds_read_b32 v71, v21 offset:4416                           // 000000006FD8: D86C1140 47000015
	ds_read_b32 v74, v21 offset:6528                           // 000000006FE0: D86C1980 4A000015
	ds_read_b32 v75, v21 offset:6592                           // 000000006FE8: D86C19C0 4B000015
	s_waitcnt lgkmcnt(0)                                       // 000000006FF0: BF8CC07F
	v_mov_b32_e32 v7, 0                                        // 000000006FF4: 7E0E0280
	s_mov_b64 exec, s[36:37]                                   // 000000006FF8: BEFE0124
	v_mov_b32_e32 v6, v38                                      // 000000006FFC: 7E0C0326
	s_mov_b64 s[60:61], 0                                      // 000000007000: BEBC0180
	v_readlane_b32 s82, v3, 0                                  // 000000007004: D2890052 00010103
	s_and_b32 s82, s82, 0xffffff                               // 00000000700C: 8652FF52 00FFFFFF
	s_cmp_lt_u32 s82, s66                                      // 000000007014: BF0A4252
	s_cselect_b32 s20, s36, s60                                // 000000007018: 85143C24
	v_readlane_b32 s82, v3, 1                                  // 00000000701C: D2890052 00010303
	s_and_b32 s82, s82, 0xffffff                               // 000000007024: 8652FF52 00FFFFFF
	s_cmp_lt_u32 s82, s66                                      // 00000000702C: BF0A4252
	s_cselect_b32 s21, s36, s60                                // 000000007030: 85153C24
	s_mov_b64 exec, s[20:21]                                   // 000000007034: BEFE0114
	global_atomic_add_f32 v6, v62, s[8:9] offset:8             // 000000007038: DD348008 00083E06
	global_atomic_add_f32 v6, v66, s[8:9] offset:264           // 000000007040: DD348108 00084206
	s_mov_b64 exec, s[36:37]                                   // 000000007048: BEFE0124
	v_mov_b32_e32 v6, v39                                      // 00000000704C: 7E0C0327
	s_mov_b64 s[60:61], 0                                      // 000000007050: BEBC0180
	v_readlane_b32 s82, v3, 2                                  // 000000007054: D2890052 00010503
	s_and_b32 s82, s82, 0xffffff                               // 00000000705C: 8652FF52 00FFFFFF
	s_cmp_lt_u32 s82, s66                                      // 000000007064: BF0A4252
	s_cselect_b32 s20, s36, s60                                // 000000007068: 85143C24
	v_readlane_b32 s82, v3, 3                                  // 00000000706C: D2890052 00010703
	s_and_b32 s82, s82, 0xffffff                               // 000000007074: 8652FF52 00FFFFFF
	s_cmp_lt_u32 s82, s66                                      // 00000000707C: BF0A4252
	s_cselect_b32 s21, s36, s60                                // 000000007080: 85153C24
	s_mov_b64 exec, s[20:21]                                   // 000000007084: BEFE0114
	global_atomic_add_f32 v6, v63, s[8:9] offset:8             // 000000007088: DD348008 00083F06
	global_atomic_add_f32 v6, v67, s[8:9] offset:264           // 000000007090: DD348108 00084306
	s_mov_b64 exec, s[36:37]                                   // 000000007098: BEFE0124
	v_mov_b32_e32 v6, v40                                      // 00000000709C: 7E0C0328
	s_mov_b64 s[60:61], 0                                      // 0000000070A0: BEBC0180
	v_readlane_b32 s82, v3, 4                                  // 0000000070A4: D2890052 00010903
	s_and_b32 s82, s82, 0xffffff                               // 0000000070AC: 8652FF52 00FFFFFF
	s_cmp_lt_u32 s82, s66                                      // 0000000070B4: BF0A4252
	s_cselect_b32 s20, s36, s60                                // 0000000070B8: 85143C24
	v_readlane_b32 s82, v3, 5                                  // 0000000070BC: D2890052 00010B03
	s_and_b32 s82, s82, 0xffffff                               // 0000000070C4: 8652FF52 00FFFFFF
	s_cmp_lt_u32 s82, s66                                      // 0000000070CC: BF0A4252
	s_cselect_b32 s21, s36, s60                                // 0000000070D0: 85153C24
	s_mov_b64 exec, s[20:21]                                   // 0000000070D4: BEFE0114
	global_atomic_add_f32 v6, v70, s[8:9] offset:8             // 0000000070D8: DD348008 00084606
	global_atomic_add_f32 v6, v74, s[8:9] offset:264           // 0000000070E0: DD348108 00084A06
	s_mov_b64 exec, s[36:37]                                   // 0000000070E8: BEFE0124
	v_mov_b32_e32 v6, v41                                      // 0000000070EC: 7E0C0329
	s_mov_b64 s[60:61], 0                                      // 0000000070F0: BEBC0180
	v_readlane_b32 s82, v3, 6                                  // 0000000070F4: D2890052 00010D03
	s_and_b32 s82, s82, 0xffffff                               // 0000000070FC: 8652FF52 00FFFFFF
	s_cmp_lt_u32 s82, s66                                      // 000000007104: BF0A4252
	s_cselect_b32 s20, s36, s60                                // 000000007108: 85143C24
	v_readlane_b32 s82, v3, 7                                  // 00000000710C: D2890052 00010F03
	s_and_b32 s82, s82, 0xffffff                               // 000000007114: 8652FF52 00FFFFFF
	s_cmp_lt_u32 s82, s66                                      // 00000000711C: BF0A4252
	s_cselect_b32 s21, s36, s60                                // 000000007120: 85153C24
	s_mov_b64 exec, s[20:21]                                   // 000000007124: BEFE0114
	global_atomic_add_f32 v6, v71, s[8:9] offset:8             // 000000007128: DD348008 00084706
	global_atomic_add_f32 v6, v75, s[8:9] offset:264           // 000000007130: DD348108 00084B06
	s_mov_b64 exec, s[36:37]                                   // 000000007138: BEFE0124
	s_branch label_11D3                                        // 00000000713C: BF820000

0000000000007140 <label_11D3>:
	s_waitcnt vmcnt(0) expcnt(0) lgkmcnt(0)                    // 000000007140: BF8C0000
	s_endpgm                                                   // 000000007144: BF810000
